;; amdgpu-corpus repo=ROCm/rocFFT kind=compiled arch=gfx1030 opt=O3
	.text
	.amdgcn_target "amdgcn-amd-amdhsa--gfx1030"
	.amdhsa_code_object_version 6
	.protected	bluestein_single_fwd_len169_dim1_dp_op_CI_CI ; -- Begin function bluestein_single_fwd_len169_dim1_dp_op_CI_CI
	.globl	bluestein_single_fwd_len169_dim1_dp_op_CI_CI
	.p2align	8
	.type	bluestein_single_fwd_len169_dim1_dp_op_CI_CI,@function
bluestein_single_fwd_len169_dim1_dp_op_CI_CI: ; @bluestein_single_fwd_len169_dim1_dp_op_CI_CI
; %bb.0:
	s_load_dwordx4 s[12:15], s[4:5], 0x28
	v_mul_u32_u24_e32 v1, 0x13b2, v0
	s_mov_b32 s0, exec_lo
	v_lshrrev_b32_e32 v1, 16, v1
	v_mad_u64_u32 v[2:3], null, s6, 19, v[1:2]
	v_mov_b32_e32 v3, 0
	s_waitcnt lgkmcnt(0)
	v_cmpx_gt_u64_e64 s[12:13], v[2:3]
	s_cbranch_execz .LBB0_2
; %bb.1:
	s_clause 0x2
	s_load_dwordx4 s[8:11], s[4:5], 0x0
	s_load_dwordx4 s[16:19], s[4:5], 0x18
	s_load_dwordx2 s[12:13], s[4:5], 0x38
	v_mul_hi_u32 v3, 0xaf286bcb, v2
	v_mul_lo_u16 v1, v1, 13
	s_mov_b32 s26, 0x4267c47c
	s_mov_b32 s20, 0x24c2f84
	;; [unrolled: 1-line block ×4, first 2 shown]
	v_sub_nc_u16 v120, v0, v1
	s_mov_b32 s21, 0xbfe5384d
	v_sub_nc_u32_e32 v4, v2, v3
	s_mov_b32 s35, 0xbfcea1e5
	s_mov_b32 s24, 0xe00740e9
	v_and_b32_e32 v167, 0xffff, v120
	s_mov_b32 s22, 0xd0032e0c
	v_lshrrev_b32_e32 v4, 1, v4
	s_mov_b32 s36, 0x93053d00
	s_mov_b32 s25, 0x3fec55a7
	v_lshlrev_b32_e32 v14, 4, v167
	s_mov_b32 s23, 0xbfe7f3cc
	s_waitcnt lgkmcnt(0)
	s_load_dwordx4 s[0:3], s[18:19], 0x0
	v_add_nc_u32_e32 v3, v4, v3
	s_load_dwordx4 s[4:7], s[16:17], 0x0
	global_load_dwordx4 v[48:51], v14, s[8:9]
	s_mov_b32 s18, 0x42a4c3d2
	s_mov_b32 s19, 0xbfea55e2
	v_lshrrev_b32_e32 v3, 4, v3
	s_mov_b32 s16, 0x1ea71119
	s_mov_b32 s17, 0x3fe22d96
	;; [unrolled: 1-line block ×4, first 2 shown]
	v_mul_lo_u32 v3, v3, 19
	s_mov_b32 s30, s20
	s_mov_b32 s39, 0x3fddbe06
	;; [unrolled: 1-line block ×7, first 2 shown]
	v_sub_nc_u32_e32 v3, v2, v3
	s_waitcnt lgkmcnt(0)
	v_mad_u64_u32 v[112:113], null, s2, v2, 0
	v_mad_u64_u32 v[0:1], null, s4, v167, 0
	v_mul_u32_u24_e32 v6, 0xa9, v3
	v_add_co_u32 v148, s2, s8, v14
	v_add_co_ci_u32_e64 v149, null, s9, 0, s2
	v_mov_b32_e32 v3, v113
	v_lshlrev_b32_e32 v121, 4, v6
	s_mul_i32 s2, s5, 0xd0
	s_mov_b32 s40, s18
	v_mad_u64_u32 v[3:4], null, s3, v2, v[3:4]
	s_mul_hi_u32 s3, s4, 0xd0
	v_add_nc_u32_e32 v166, v14, v121
	s_add_i32 s2, s3, s2
	s_mul_i32 s3, s4, 0xd0
	v_mov_b32_e32 v113, v3
	v_mad_u64_u32 v[3:4], null, s6, v2, 0
	v_mad_u64_u32 v[4:5], null, s7, v2, v[4:5]
	;; [unrolled: 1-line block ×3, first 2 shown]
	s_mov_b32 s4, 0x66966769
	s_mov_b32 s6, 0x2ef20147
	;; [unrolled: 1-line block ×4, first 2 shown]
	v_lshlrev_b64 v[2:3], 4, v[3:4]
	s_mov_b32 s28, s6
	v_lshlrev_b64 v[0:1], 4, v[0:1]
	v_add_co_u32 v2, vcc_lo, s14, v2
	v_add_co_ci_u32_e32 v3, vcc_lo, s15, v3, vcc_lo
	s_mov_b32 s15, 0x3fefc445
	v_add_co_u32 v8, vcc_lo, v2, v0
	v_add_co_ci_u32_e32 v9, vcc_lo, v3, v1, vcc_lo
	s_mov_b32 s14, s4
	global_load_dwordx4 v[0:3], v[8:9], off
	v_add_co_u32 v8, vcc_lo, v8, s3
	v_add_co_ci_u32_e32 v9, vcc_lo, s2, v9, vcc_lo
	s_waitcnt vmcnt(0)
	v_mul_f64 v[4:5], v[2:3], v[50:51]
	v_fma_f64 v[4:5], v[0:1], v[48:49], v[4:5]
	v_mul_f64 v[0:1], v[0:1], v[50:51]
	v_fma_f64 v[6:7], v[2:3], v[48:49], -v[0:1]
	ds_write_b128 v166, v[4:7]
	global_load_dwordx4 v[0:3], v[8:9], off
	global_load_dwordx4 v[44:47], v14, s[8:9] offset:208
	v_add_co_u32 v8, vcc_lo, v8, s3
	v_add_co_ci_u32_e32 v9, vcc_lo, s2, v9, vcc_lo
	s_waitcnt vmcnt(0)
	v_mul_f64 v[4:5], v[2:3], v[46:47]
	v_fma_f64 v[4:5], v[0:1], v[44:45], v[4:5]
	v_mul_f64 v[0:1], v[0:1], v[46:47]
	v_fma_f64 v[6:7], v[2:3], v[44:45], -v[0:1]
	ds_write_b128 v166, v[4:7] offset:208
	global_load_dwordx4 v[0:3], v[8:9], off
	global_load_dwordx4 v[16:19], v14, s[8:9] offset:416
	v_add_co_u32 v8, vcc_lo, v8, s3
	v_add_co_ci_u32_e32 v9, vcc_lo, s2, v9, vcc_lo
	s_waitcnt vmcnt(0)
	v_mul_f64 v[4:5], v[2:3], v[18:19]
	v_fma_f64 v[4:5], v[0:1], v[16:17], v[4:5]
	v_mul_f64 v[0:1], v[0:1], v[18:19]
	v_fma_f64 v[6:7], v[2:3], v[16:17], -v[0:1]
	ds_write_b128 v166, v[4:7] offset:416
	;; [unrolled: 10-line block ×5, first 2 shown]
	global_load_dwordx4 v[0:3], v[8:9], off
	global_load_dwordx4 v[36:39], v14, s[8:9] offset:1248
	v_add_co_u32 v8, vcc_lo, v8, s3
	v_add_co_ci_u32_e32 v9, vcc_lo, s2, v9, vcc_lo
	v_add_co_u32 v12, vcc_lo, v8, s3
	v_add_co_ci_u32_e32 v13, vcc_lo, s2, v9, vcc_lo
	;; [unrolled: 2-line block ×6, first 2 shown]
	s_waitcnt vmcnt(0)
	v_mul_f64 v[4:5], v[2:3], v[38:39]
	v_fma_f64 v[4:5], v[0:1], v[36:37], v[4:5]
	v_mul_f64 v[0:1], v[0:1], v[38:39]
	v_fma_f64 v[6:7], v[2:3], v[36:37], -v[0:1]
	ds_write_b128 v166, v[4:7] offset:1248
	global_load_dwordx4 v[0:3], v[8:9], off
	global_load_dwordx4 v[40:43], v14, s[8:9] offset:1456
	s_waitcnt vmcnt(0)
	v_mul_f64 v[4:5], v[2:3], v[42:43]
	v_fma_f64 v[4:5], v[0:1], v[40:41], v[4:5]
	v_mul_f64 v[0:1], v[0:1], v[42:43]
	v_fma_f64 v[6:7], v[2:3], v[40:41], -v[0:1]
	ds_write_b128 v166, v[4:7] offset:1456
	global_load_dwordx4 v[0:3], v[12:13], off
	global_load_dwordx4 v[8:11], v14, s[8:9] offset:1664
	;; [unrolled: 8-line block ×3, first 2 shown]
	s_mov_b32 s8, 0xb2365da1
	s_mov_b32 s9, 0xbfd6b1d8
	s_waitcnt vmcnt(0)
	v_mul_f64 v[4:5], v[2:3], v[14:15]
	v_fma_f64 v[4:5], v[0:1], v[12:13], v[4:5]
	v_mul_f64 v[0:1], v[0:1], v[14:15]
	v_fma_f64 v[6:7], v[2:3], v[12:13], -v[0:1]
	global_load_dwordx4 v[0:3], v[52:53], off
	ds_write_b128 v166, v[4:7] offset:1872
	global_load_dwordx4 v[4:7], v[114:115], off offset:32
	s_waitcnt vmcnt(0)
	v_mul_f64 v[20:21], v[2:3], v[6:7]
	v_fma_f64 v[20:21], v[0:1], v[4:5], v[20:21]
	v_mul_f64 v[0:1], v[0:1], v[6:7]
	v_fma_f64 v[22:23], v[2:3], v[4:5], -v[0:1]
	ds_write_b128 v166, v[20:23] offset:2080
	global_load_dwordx4 v[0:3], v[56:57], off
	global_load_dwordx4 v[20:23], v[114:115], off offset:240
	s_waitcnt vmcnt(0)
	v_mul_f64 v[52:53], v[2:3], v[22:23]
	v_fma_f64 v[52:53], v[0:1], v[20:21], v[52:53]
	v_mul_f64 v[0:1], v[0:1], v[22:23]
	v_fma_f64 v[54:55], v[2:3], v[20:21], -v[0:1]
	v_add_co_u32 v0, vcc_lo, v56, s3
	v_add_co_ci_u32_e32 v1, vcc_lo, s2, v57, vcc_lo
	s_mov_b32 s2, 0xebaa3ed8
	s_mov_b32 s3, 0x3fbedb7d
	ds_write_b128 v166, v[52:55] offset:2288
	global_load_dwordx4 v[52:55], v[0:1], off
	global_load_dwordx4 v[0:3], v[114:115], off offset:448
	s_waitcnt vmcnt(0)
	v_mul_f64 v[56:57], v[54:55], v[2:3]
	v_fma_f64 v[56:57], v[52:53], v[0:1], v[56:57]
	v_mul_f64 v[52:53], v[52:53], v[2:3]
	v_fma_f64 v[58:59], v[54:55], v[0:1], -v[52:53]
	ds_write_b128 v166, v[56:59] offset:2496
	s_waitcnt lgkmcnt(0)
	s_barrier
	buffer_gl0_inv
	ds_read_b128 v[64:67], v166
	ds_read_b128 v[68:71], v166 offset:208
	ds_read_b128 v[72:75], v166 offset:416
	;; [unrolled: 1-line block ×12, first 2 shown]
	s_waitcnt lgkmcnt(0)
	s_barrier
	buffer_gl0_inv
	v_add_f64 v[52:53], v[64:65], v[68:69]
	v_add_f64 v[54:55], v[66:67], v[70:71]
	;; [unrolled: 1-line block ×3, first 2 shown]
	v_add_f64 v[70:71], v[70:71], -v[106:107]
	v_add_f64 v[108:109], v[68:69], v[104:105]
	v_add_f64 v[68:69], v[68:69], -v[104:105]
	v_add_f64 v[52:53], v[52:53], v[72:73]
	v_add_f64 v[54:55], v[54:55], v[74:75]
	v_mul_f64 v[122:123], v[70:71], s[18:19]
	v_mul_f64 v[130:131], v[70:71], s[4:5]
	;; [unrolled: 1-line block ×10, first 2 shown]
	v_add_f64 v[52:53], v[52:53], v[76:77]
	v_add_f64 v[54:55], v[54:55], v[78:79]
	v_fma_f64 v[124:125], v[108:109], s[16:17], -v[122:123]
	v_fma_f64 v[122:123], v[108:109], s[16:17], v[122:123]
	v_fma_f64 v[132:133], v[108:109], s[2:3], -v[130:131]
	v_fma_f64 v[130:131], v[108:109], s[2:3], v[130:131]
	;; [unrolled: 2-line block ×4, first 2 shown]
	v_fma_f64 v[118:119], v[110:111], s[24:25], v[116:117]
	v_fma_f64 v[116:117], v[110:111], s[24:25], -v[116:117]
	v_add_f64 v[52:53], v[52:53], v[80:81]
	v_add_f64 v[54:55], v[54:55], v[82:83]
	v_fma_f64 v[128:129], v[110:111], s[16:17], v[126:127]
	v_fma_f64 v[126:127], v[110:111], s[16:17], -v[126:127]
	v_fma_f64 v[136:137], v[110:111], s[2:3], v[134:135]
	v_fma_f64 v[134:135], v[110:111], s[2:3], -v[134:135]
	;; [unrolled: 2-line block ×5, first 2 shown]
	v_add_f64 v[124:125], v[64:65], v[124:125]
	v_add_f64 v[122:123], v[64:65], v[122:123]
	;; [unrolled: 1-line block ×23, first 2 shown]
	v_add_f64 v[72:73], v[72:73], -v[100:101]
	v_add_f64 v[52:53], v[52:53], v[56:57]
	v_add_f64 v[54:55], v[54:55], v[58:59]
	;; [unrolled: 1-line block ×13, first 2 shown]
	v_mul_f64 v[104:105], v[70:71], s[26:27]
	v_mul_f64 v[70:71], v[70:71], s[34:35]
	v_add_f64 v[54:55], v[54:55], v[106:107]
	v_fma_f64 v[106:107], v[108:109], s[24:25], -v[104:105]
	v_fma_f64 v[104:105], v[108:109], s[24:25], v[104:105]
	v_fma_f64 v[156:157], v[108:109], s[36:37], -v[70:71]
	v_fma_f64 v[70:71], v[108:109], s[36:37], v[70:71]
	v_add_f64 v[106:107], v[64:65], v[106:107]
	v_add_f64 v[104:105], v[64:65], v[104:105]
	;; [unrolled: 1-line block ×5, first 2 shown]
	v_add_f64 v[74:75], v[74:75], -v[102:103]
	v_mul_f64 v[100:101], v[74:75], s[18:19]
	v_fma_f64 v[102:103], v[68:69], s[16:17], -v[100:101]
	v_fma_f64 v[100:101], v[68:69], s[16:17], v[100:101]
	v_add_f64 v[102:103], v[102:103], v[106:107]
	v_mul_f64 v[106:107], v[72:73], s[18:19]
	v_add_f64 v[100:101], v[100:101], v[104:105]
	v_fma_f64 v[108:109], v[70:71], s[16:17], v[106:107]
	v_fma_f64 v[104:105], v[70:71], s[16:17], -v[106:107]
	v_mul_f64 v[106:107], v[74:75], s[6:7]
	v_add_f64 v[108:109], v[108:109], v[118:119]
	v_add_f64 v[104:105], v[104:105], v[116:117]
	v_fma_f64 v[110:111], v[68:69], s[8:9], -v[106:107]
	v_fma_f64 v[106:107], v[68:69], s[8:9], v[106:107]
	v_mul_f64 v[116:117], v[72:73], s[6:7]
	v_add_f64 v[110:111], v[110:111], v[124:125]
	v_add_f64 v[106:107], v[106:107], v[122:123]
	v_mul_f64 v[122:123], v[74:75], s[34:35]
	v_fma_f64 v[118:119], v[70:71], s[8:9], v[116:117]
	v_fma_f64 v[116:117], v[70:71], s[8:9], -v[116:117]
	v_fma_f64 v[124:125], v[68:69], s[36:37], -v[122:123]
	v_fma_f64 v[122:123], v[68:69], s[36:37], v[122:123]
	v_add_f64 v[116:117], v[116:117], v[126:127]
	v_mul_f64 v[126:127], v[72:73], s[34:35]
	v_add_f64 v[118:119], v[118:119], v[128:129]
	v_add_f64 v[124:125], v[124:125], v[132:133]
	;; [unrolled: 1-line block ×3, first 2 shown]
	v_mul_f64 v[130:131], v[74:75], s[30:31]
	v_fma_f64 v[128:129], v[70:71], s[36:37], v[126:127]
	v_fma_f64 v[126:127], v[70:71], s[36:37], -v[126:127]
	v_fma_f64 v[132:133], v[68:69], s[22:23], -v[130:131]
	v_fma_f64 v[130:131], v[68:69], s[22:23], v[130:131]
	v_add_f64 v[126:127], v[126:127], v[134:135]
	v_mul_f64 v[134:135], v[72:73], s[30:31]
	v_add_f64 v[128:129], v[128:129], v[136:137]
	v_add_f64 v[132:133], v[132:133], v[140:141]
	;; [unrolled: 1-line block ×3, first 2 shown]
	v_mul_f64 v[138:139], v[74:75], s[14:15]
	v_fma_f64 v[136:137], v[70:71], s[22:23], v[134:135]
	v_fma_f64 v[134:135], v[70:71], s[22:23], -v[134:135]
	v_mul_f64 v[74:75], v[74:75], s[38:39]
	v_fma_f64 v[140:141], v[68:69], s[2:3], -v[138:139]
	v_fma_f64 v[138:139], v[68:69], s[2:3], v[138:139]
	v_add_f64 v[134:135], v[134:135], v[142:143]
	v_mul_f64 v[142:143], v[72:73], s[14:15]
	v_mul_f64 v[72:73], v[72:73], s[38:39]
	v_add_f64 v[136:137], v[136:137], v[144:145]
	v_add_f64 v[140:141], v[140:141], v[150:151]
	;; [unrolled: 1-line block ×3, first 2 shown]
	v_fma_f64 v[146:147], v[68:69], s[24:25], -v[74:75]
	v_fma_f64 v[68:69], v[68:69], s[24:25], v[74:75]
	v_add_f64 v[74:75], v[78:79], -v[98:99]
	v_fma_f64 v[150:151], v[70:71], s[24:25], v[72:73]
	v_fma_f64 v[144:145], v[70:71], s[2:3], v[142:143]
	v_fma_f64 v[142:143], v[70:71], s[2:3], -v[142:143]
	v_add_f64 v[146:147], v[146:147], v[156:157]
	v_add_f64 v[64:65], v[68:69], v[64:65]
	v_fma_f64 v[68:69], v[70:71], s[24:25], -v[72:73]
	v_add_f64 v[72:73], v[76:77], -v[96:97]
	v_add_f64 v[70:71], v[78:79], v[98:99]
	v_add_f64 v[142:143], v[142:143], v[152:153]
	;; [unrolled: 1-line block ×6, first 2 shown]
	v_mul_f64 v[76:77], v[74:75], s[4:5]
	v_mul_f64 v[96:97], v[72:73], s[4:5]
	v_fma_f64 v[78:79], v[68:69], s[2:3], -v[76:77]
	v_fma_f64 v[76:77], v[68:69], s[2:3], v[76:77]
	v_fma_f64 v[98:99], v[70:71], s[2:3], v[96:97]
	v_fma_f64 v[96:97], v[70:71], s[2:3], -v[96:97]
	v_add_f64 v[78:79], v[78:79], v[102:103]
	v_add_f64 v[76:77], v[76:77], v[100:101]
	v_mul_f64 v[100:101], v[74:75], s[34:35]
	v_add_f64 v[96:97], v[96:97], v[104:105]
	v_mul_f64 v[104:105], v[72:73], s[34:35]
	v_add_f64 v[98:99], v[98:99], v[108:109]
	v_fma_f64 v[102:103], v[68:69], s[36:37], -v[100:101]
	v_fma_f64 v[100:101], v[68:69], s[36:37], v[100:101]
	v_fma_f64 v[108:109], v[70:71], s[36:37], v[104:105]
	v_fma_f64 v[104:105], v[70:71], s[36:37], -v[104:105]
	v_add_f64 v[102:103], v[102:103], v[110:111]
	v_add_f64 v[100:101], v[100:101], v[106:107]
	v_mul_f64 v[106:107], v[74:75], s[28:29]
	v_add_f64 v[104:105], v[104:105], v[116:117]
	v_mul_f64 v[116:117], v[72:73], s[28:29]
	v_add_f64 v[108:109], v[108:109], v[118:119]
	;; [unrolled: 10-line block ×3, first 2 shown]
	v_fma_f64 v[124:125], v[68:69], s[24:25], -v[122:123]
	v_fma_f64 v[122:123], v[68:69], s[24:25], v[122:123]
	v_fma_f64 v[128:129], v[70:71], s[24:25], v[126:127]
	v_fma_f64 v[126:127], v[70:71], s[24:25], -v[126:127]
	v_add_f64 v[124:125], v[124:125], v[132:133]
	v_add_f64 v[122:123], v[122:123], v[130:131]
	v_mul_f64 v[130:131], v[74:75], s[18:19]
	v_mul_f64 v[74:75], v[74:75], s[20:21]
	v_add_f64 v[126:127], v[126:127], v[134:135]
	v_mul_f64 v[134:135], v[72:73], s[18:19]
	v_mul_f64 v[72:73], v[72:73], s[20:21]
	v_add_f64 v[128:129], v[128:129], v[136:137]
	v_fma_f64 v[132:133], v[68:69], s[16:17], -v[130:131]
	v_fma_f64 v[130:131], v[68:69], s[16:17], v[130:131]
	v_fma_f64 v[136:137], v[70:71], s[16:17], v[134:135]
	v_fma_f64 v[134:135], v[70:71], s[16:17], -v[134:135]
	v_add_f64 v[132:133], v[132:133], v[140:141]
	v_add_f64 v[130:131], v[130:131], v[138:139]
	v_fma_f64 v[138:139], v[68:69], s[22:23], -v[74:75]
	v_fma_f64 v[68:69], v[68:69], s[22:23], v[74:75]
	v_add_f64 v[74:75], v[82:83], -v[94:95]
	v_fma_f64 v[140:141], v[70:71], s[22:23], v[72:73]
	v_add_f64 v[134:135], v[134:135], v[142:143]
	v_add_f64 v[136:137], v[136:137], v[144:145]
	;; [unrolled: 1-line block ×4, first 2 shown]
	v_fma_f64 v[68:69], v[70:71], s[22:23], -v[72:73]
	v_add_f64 v[72:73], v[80:81], -v[92:93]
	v_add_f64 v[70:71], v[82:83], v[94:95]
	v_add_f64 v[140:141], v[140:141], v[150:151]
	;; [unrolled: 1-line block ×5, first 2 shown]
	v_mul_f64 v[80:81], v[74:75], s[6:7]
	v_fma_f64 v[82:83], v[68:69], s[8:9], -v[80:81]
	v_fma_f64 v[80:81], v[68:69], s[8:9], v[80:81]
	v_add_f64 v[78:79], v[82:83], v[78:79]
	v_mul_f64 v[82:83], v[72:73], s[6:7]
	v_add_f64 v[76:77], v[80:81], v[76:77]
	v_fma_f64 v[92:93], v[70:71], s[8:9], v[82:83]
	v_fma_f64 v[80:81], v[70:71], s[8:9], -v[82:83]
	v_mul_f64 v[82:83], v[74:75], s[30:31]
	v_add_f64 v[92:93], v[92:93], v[98:99]
	v_add_f64 v[80:81], v[80:81], v[96:97]
	v_fma_f64 v[94:95], v[68:69], s[22:23], -v[82:83]
	v_fma_f64 v[82:83], v[68:69], s[22:23], v[82:83]
	v_mul_f64 v[96:97], v[72:73], s[30:31]
	v_add_f64 v[94:95], v[94:95], v[102:103]
	v_add_f64 v[82:83], v[82:83], v[100:101]
	v_mul_f64 v[100:101], v[74:75], s[38:39]
	v_fma_f64 v[98:99], v[70:71], s[22:23], v[96:97]
	v_fma_f64 v[96:97], v[70:71], s[22:23], -v[96:97]
	v_fma_f64 v[102:103], v[68:69], s[24:25], -v[100:101]
	v_fma_f64 v[100:101], v[68:69], s[24:25], v[100:101]
	v_add_f64 v[96:97], v[96:97], v[104:105]
	v_add_f64 v[98:99], v[98:99], v[108:109]
	;; [unrolled: 1-line block ×3, first 2 shown]
	v_mul_f64 v[102:103], v[72:73], s[38:39]
	v_add_f64 v[144:145], v[100:101], v[106:107]
	v_fma_f64 v[100:101], v[70:71], s[24:25], -v[102:103]
	v_fma_f64 v[104:105], v[70:71], s[24:25], v[102:103]
	v_add_f64 v[116:117], v[100:101], v[116:117]
	v_mul_f64 v[100:101], v[74:75], s[4:5]
	v_add_f64 v[118:119], v[104:105], v[118:119]
	v_fma_f64 v[102:103], v[68:69], s[2:3], -v[100:101]
	v_fma_f64 v[100:101], v[68:69], s[2:3], v[100:101]
	v_add_f64 v[124:125], v[102:103], v[124:125]
	;; [unrolled: 5-line block ×3, first 2 shown]
	v_mul_f64 v[100:101], v[74:75], s[42:43]
	v_mul_f64 v[74:75], v[74:75], s[40:41]
	v_add_f64 v[128:129], v[104:105], v[128:129]
	v_fma_f64 v[102:103], v[68:69], s[36:37], -v[100:101]
	v_fma_f64 v[100:101], v[68:69], s[36:37], v[100:101]
	v_add_f64 v[132:133], v[102:103], v[132:133]
	v_mul_f64 v[102:103], v[72:73], s[42:43]
	v_add_f64 v[130:131], v[100:101], v[130:131]
	v_mul_f64 v[72:73], v[72:73], s[40:41]
	v_fma_f64 v[100:101], v[70:71], s[36:37], -v[102:103]
	v_fma_f64 v[104:105], v[70:71], s[36:37], v[102:103]
	v_add_f64 v[134:135], v[100:101], v[134:135]
	v_fma_f64 v[100:101], v[68:69], s[16:17], -v[74:75]
	v_fma_f64 v[68:69], v[68:69], s[16:17], v[74:75]
	v_add_f64 v[136:137], v[104:105], v[136:137]
	v_add_f64 v[138:139], v[100:101], v[138:139]
	v_fma_f64 v[100:101], v[70:71], s[16:17], v[72:73]
	v_add_f64 v[64:65], v[68:69], v[64:65]
	v_fma_f64 v[68:69], v[70:71], s[16:17], -v[72:73]
	v_add_f64 v[70:71], v[86:87], -v[90:91]
	v_add_f64 v[140:141], v[100:101], v[140:141]
	v_add_f64 v[146:147], v[68:69], v[66:67]
	;; [unrolled: 1-line block ×3, first 2 shown]
	v_mul_f64 v[72:73], v[70:71], s[20:21]
	v_add_f64 v[68:69], v[84:85], -v[88:89]
	v_fma_f64 v[74:75], v[66:67], s[22:23], -v[72:73]
	v_fma_f64 v[72:73], v[66:67], s[22:23], v[72:73]
	v_add_f64 v[108:109], v[74:75], v[78:79]
	v_mul_f64 v[74:75], v[68:69], s[20:21]
	v_add_f64 v[106:107], v[72:73], v[76:77]
	v_fma_f64 v[72:73], v[150:151], s[22:23], -v[74:75]
	v_fma_f64 v[78:79], v[150:151], s[22:23], v[74:75]
	v_add_f64 v[104:105], v[72:73], v[80:81]
	v_mul_f64 v[72:73], v[70:71], s[14:15]
	v_add_f64 v[110:111], v[78:79], v[92:93]
	v_fma_f64 v[74:75], v[66:67], s[2:3], -v[72:73]
	v_fma_f64 v[72:73], v[66:67], s[2:3], v[72:73]
	v_add_f64 v[100:101], v[74:75], v[94:95]
	v_mul_f64 v[74:75], v[68:69], s[14:15]
	v_fma_f64 v[76:77], v[150:151], s[2:3], v[74:75]
	v_add_f64 v[102:103], v[76:77], v[98:99]
	v_add_f64 v[98:99], v[72:73], v[82:83]
	v_fma_f64 v[72:73], v[150:151], s[2:3], -v[74:75]
	v_add_f64 v[96:97], v[72:73], v[96:97]
	v_mul_f64 v[72:73], v[70:71], s[18:19]
	v_fma_f64 v[74:75], v[66:67], s[16:17], -v[72:73]
	v_fma_f64 v[72:73], v[66:67], s[16:17], v[72:73]
	v_add_f64 v[92:93], v[74:75], v[142:143]
	v_mul_f64 v[74:75], v[68:69], s[18:19]
	v_add_f64 v[90:91], v[72:73], v[144:145]
	v_fma_f64 v[72:73], v[150:151], s[16:17], -v[74:75]
	v_fma_f64 v[76:77], v[150:151], s[16:17], v[74:75]
	v_add_f64 v[88:89], v[72:73], v[116:117]
	v_mul_f64 v[72:73], v[70:71], s[42:43]
	v_add_f64 v[94:95], v[76:77], v[118:119]
	v_mul_f64 v[116:117], v[68:69], s[38:39]
	v_mul_f64 v[118:119], v[68:69], s[6:7]
	v_fma_f64 v[74:75], v[66:67], s[36:37], -v[72:73]
	v_fma_f64 v[72:73], v[66:67], s[36:37], v[72:73]
	v_add_f64 v[84:85], v[74:75], v[124:125]
	v_mul_f64 v[74:75], v[68:69], s[42:43]
	v_add_f64 v[82:83], v[72:73], v[122:123]
	v_fma_f64 v[68:69], v[150:151], s[8:9], v[118:119]
	v_fma_f64 v[72:73], v[150:151], s[36:37], -v[74:75]
	v_fma_f64 v[76:77], v[150:151], s[36:37], v[74:75]
	v_add_f64 v[68:69], v[68:69], v[140:141]
	v_add_f64 v[80:81], v[72:73], v[126:127]
	v_mul_f64 v[72:73], v[70:71], s[38:39]
	v_add_f64 v[86:87], v[76:77], v[128:129]
	v_fma_f64 v[74:75], v[66:67], s[24:25], -v[72:73]
	v_fma_f64 v[72:73], v[66:67], s[24:25], v[72:73]
	v_add_f64 v[76:77], v[74:75], v[132:133]
	v_fma_f64 v[74:75], v[150:151], s[24:25], v[116:117]
	v_add_f64 v[78:79], v[74:75], v[136:137]
	v_add_f64 v[74:75], v[72:73], v[130:131]
	v_fma_f64 v[72:73], v[150:151], s[24:25], -v[116:117]
	v_mul_f64 v[116:117], v[70:71], s[6:7]
	v_add_f64 v[72:73], v[72:73], v[134:135]
	v_fma_f64 v[70:71], v[66:67], s[8:9], -v[116:117]
	v_fma_f64 v[66:67], v[66:67], s[8:9], v[116:117]
	v_add_f64 v[116:117], v[58:59], v[62:63]
	v_add_f64 v[58:59], v[58:59], -v[62:63]
	v_add_f64 v[70:71], v[70:71], v[138:139]
	v_add_f64 v[66:67], v[66:67], v[64:65]
	v_fma_f64 v[64:65], v[150:151], s[8:9], -v[118:119]
	v_add_f64 v[118:119], v[56:57], v[60:61]
	v_mul_f64 v[122:123], v[58:59], s[34:35]
	v_add_f64 v[56:57], v[56:57], -v[60:61]
	v_add_f64 v[64:65], v[64:65], v[146:147]
	v_fma_f64 v[60:61], v[118:119], s[36:37], -v[122:123]
	v_add_f64 v[60:61], v[60:61], v[108:109]
	v_mul_f64 v[108:109], v[56:57], s[34:35]
	v_fma_f64 v[62:63], v[116:117], s[36:37], v[108:109]
	v_fma_f64 v[108:109], v[116:117], s[36:37], -v[108:109]
	v_add_f64 v[62:63], v[62:63], v[110:111]
	v_fma_f64 v[110:111], v[118:119], s[36:37], v[122:123]
	v_add_f64 v[108:109], v[108:109], v[104:105]
	v_mul_f64 v[104:105], v[58:59], s[38:39]
	v_add_f64 v[106:107], v[110:111], v[106:107]
	v_fma_f64 v[110:111], v[118:119], s[24:25], -v[104:105]
	v_fma_f64 v[104:105], v[118:119], s[24:25], v[104:105]
	v_add_f64 v[100:101], v[110:111], v[100:101]
	v_mul_f64 v[110:111], v[56:57], s[38:39]
	v_fma_f64 v[122:123], v[116:117], s[24:25], v[110:111]
	v_add_f64 v[102:103], v[122:123], v[102:103]
	v_add_f64 v[122:123], v[104:105], v[98:99]
	v_fma_f64 v[98:99], v[116:117], s[24:25], -v[110:111]
	v_add_f64 v[124:125], v[98:99], v[96:97]
	v_mul_f64 v[96:97], v[58:59], s[20:21]
	v_fma_f64 v[98:99], v[118:119], s[22:23], -v[96:97]
	v_fma_f64 v[96:97], v[118:119], s[22:23], v[96:97]
	v_add_f64 v[92:93], v[98:99], v[92:93]
	v_mul_f64 v[98:99], v[56:57], s[20:21]
	v_add_f64 v[96:97], v[96:97], v[90:91]
	v_fma_f64 v[90:91], v[116:117], s[22:23], -v[98:99]
	v_fma_f64 v[104:105], v[116:117], s[22:23], v[98:99]
	v_add_f64 v[98:99], v[90:91], v[88:89]
	v_mul_f64 v[88:89], v[58:59], s[40:41]
	v_add_f64 v[94:95], v[104:105], v[94:95]
	;; [unrolled: 5-line block ×4, first 2 shown]
	v_mul_f64 v[58:59], v[58:59], s[14:15]
	v_fma_f64 v[82:83], v[118:119], s[8:9], -v[80:81]
	v_fma_f64 v[80:81], v[118:119], s[8:9], v[80:81]
	v_add_f64 v[76:77], v[82:83], v[76:77]
	v_mul_f64 v[82:83], v[56:57], s[6:7]
	v_add_f64 v[80:81], v[80:81], v[74:75]
	v_fma_f64 v[74:75], v[116:117], s[8:9], -v[82:83]
	v_fma_f64 v[104:105], v[116:117], s[8:9], v[82:83]
	v_add_f64 v[82:83], v[74:75], v[72:73]
	v_mul_f64 v[74:75], v[56:57], s[14:15]
	v_fma_f64 v[72:73], v[118:119], s[2:3], -v[58:59]
	v_add_f64 v[78:79], v[104:105], v[78:79]
	v_fma_f64 v[56:57], v[116:117], s[2:3], v[74:75]
	v_add_f64 v[70:71], v[72:73], v[70:71]
	v_add_f64 v[72:73], v[56:57], v[68:69]
	v_fma_f64 v[56:57], v[118:119], s[2:3], v[58:59]
	v_fma_f64 v[58:59], v[116:117], s[2:3], -v[74:75]
	v_add_f64 v[56:57], v[56:57], v[66:67]
	v_add_f64 v[58:59], v[58:59], v[64:65]
	v_mul_lo_u16 v64, v120, 13
	v_and_b32_e32 v64, 0xffff, v64
	v_lshl_add_u32 v168, v64, 4, v121
	ds_write_b128 v168, v[52:55]
	ds_write_b128 v168, v[60:63] offset:16
	ds_write_b128 v168, v[100:103] offset:32
	;; [unrolled: 1-line block ×12, first 2 shown]
	v_mul_u32_u24_e32 v52, 12, v167
	s_waitcnt lgkmcnt(0)
	s_barrier
	buffer_gl0_inv
	ds_read_b128 v[104:107], v166
	ds_read_b128 v[64:67], v166 offset:208
	ds_read_b128 v[68:71], v166 offset:416
	;; [unrolled: 1-line block ×12, first 2 shown]
	v_lshlrev_b32_e32 v132, 4, v52
	s_clause 0x3
	global_load_dwordx4 v[52:55], v132, s[10:11] offset:48
	global_load_dwordx4 v[56:59], v132, s[10:11] offset:32
	;; [unrolled: 1-line block ×3, first 2 shown]
	global_load_dwordx4 v[76:79], v132, s[10:11]
	s_waitcnt vmcnt(0) lgkmcnt(11)
	v_mul_f64 v[88:89], v[66:67], v[78:79]
	v_fma_f64 v[162:163], v[64:65], v[76:77], -v[88:89]
	v_mul_f64 v[64:65], v[64:65], v[78:79]
	v_fma_f64 v[164:165], v[66:67], v[76:77], v[64:65]
	s_waitcnt lgkmcnt(10)
	v_mul_f64 v[64:65], v[70:71], v[62:63]
	v_fma_f64 v[144:145], v[68:69], v[60:61], -v[64:65]
	v_mul_f64 v[64:65], v[68:69], v[62:63]
	v_fma_f64 v[142:143], v[70:71], v[60:61], v[64:65]
	s_waitcnt lgkmcnt(9)
	;; [unrolled: 5-line block ×3, first 2 shown]
	v_mul_f64 v[64:65], v[82:83], v[54:55]
	v_fma_f64 v[130:131], v[80:81], v[52:53], -v[64:65]
	v_mul_f64 v[64:65], v[80:81], v[54:55]
	v_fma_f64 v[128:129], v[82:83], v[52:53], v[64:65]
	s_clause 0x3
	global_load_dwordx4 v[64:67], v132, s[10:11] offset:112
	global_load_dwordx4 v[68:71], v132, s[10:11] offset:96
	global_load_dwordx4 v[80:83], v132, s[10:11] offset:80
	global_load_dwordx4 v[88:91], v132, s[10:11] offset:64
	s_waitcnt vmcnt(0) lgkmcnt(7)
	v_mul_f64 v[72:73], v[86:87], v[90:91]
	v_fma_f64 v[124:125], v[84:85], v[88:89], -v[72:73]
	v_mul_f64 v[72:73], v[84:85], v[90:91]
	v_fma_f64 v[120:121], v[86:87], v[88:89], v[72:73]
	s_waitcnt lgkmcnt(6)
	v_mul_f64 v[72:73], v[94:95], v[82:83]
	v_fma_f64 v[116:117], v[92:93], v[80:81], -v[72:73]
	v_mul_f64 v[72:73], v[92:93], v[82:83]
	v_fma_f64 v[108:109], v[94:95], v[80:81], v[72:73]
	s_waitcnt lgkmcnt(5)
	;; [unrolled: 5-line block ×3, first 2 shown]
	v_mul_f64 v[72:73], v[138:139], v[66:67]
	v_fma_f64 v[126:127], v[136:137], v[64:65], -v[72:73]
	v_mul_f64 v[72:73], v[136:137], v[66:67]
	v_fma_f64 v[122:123], v[138:139], v[64:65], v[72:73]
	s_clause 0x3
	global_load_dwordx4 v[72:75], v132, s[10:11] offset:176
	global_load_dwordx4 v[84:87], v132, s[10:11] offset:160
	;; [unrolled: 1-line block ×4, first 2 shown]
	s_waitcnt vmcnt(1) lgkmcnt(2)
	v_mul_f64 v[138:139], v[156:157], v[94:95]
	s_waitcnt vmcnt(0)
	v_mul_f64 v[132:133], v[152:153], v[98:99]
	v_fma_f64 v[146:147], v[154:155], v[92:93], -v[138:139]
	v_mul_f64 v[138:139], v[154:155], v[94:95]
	s_waitcnt lgkmcnt(0)
	v_mul_f64 v[154:155], v[102:103], v[74:75]
	v_fma_f64 v[136:137], v[150:151], v[96:97], -v[132:133]
	v_mul_f64 v[132:133], v[150:151], v[98:99]
	v_mul_f64 v[150:151], v[160:161], v[86:87]
	v_fma_f64 v[138:139], v[156:157], v[92:93], v[138:139]
	v_fma_f64 v[154:155], v[100:101], v[72:73], -v[154:155]
	v_mul_f64 v[100:101], v[100:101], v[74:75]
	v_fma_f64 v[132:133], v[152:153], v[96:97], v[132:133]
	v_mul_f64 v[152:153], v[158:159], v[86:87]
	v_fma_f64 v[150:151], v[158:159], v[84:85], -v[150:151]
	v_add_f64 v[158:159], v[162:163], v[154:155]
	v_fma_f64 v[156:157], v[102:103], v[72:73], v[100:101]
	v_add_f64 v[102:103], v[106:107], v[164:165]
	v_add_f64 v[100:101], v[104:105], v[162:163]
	v_fma_f64 v[152:153], v[160:161], v[84:85], v[152:153]
	v_add_f64 v[160:161], v[164:165], v[156:157]
	v_add_f64 v[102:103], v[102:103], v[142:143]
	;; [unrolled: 1-line block ×22, first 2 shown]
	v_add_f64 v[156:157], v[164:165], -v[156:157]
	v_add_f64 v[100:101], v[100:101], v[154:155]
	v_add_f64 v[154:155], v[162:163], -v[154:155]
	v_mul_f64 v[162:163], v[156:157], s[26:27]
	v_mul_f64 v[173:174], v[156:157], s[18:19]
	;; [unrolled: 1-line block ×12, first 2 shown]
	v_fma_f64 v[164:165], v[158:159], s[24:25], -v[162:163]
	v_fma_f64 v[162:163], v[158:159], s[24:25], v[162:163]
	v_fma_f64 v[175:176], v[158:159], s[16:17], -v[173:174]
	v_fma_f64 v[173:174], v[158:159], s[16:17], v[173:174]
	;; [unrolled: 2-line block ×6, first 2 shown]
	v_fma_f64 v[171:172], v[160:161], s[24:25], v[169:170]
	v_fma_f64 v[169:170], v[160:161], s[24:25], -v[169:170]
	v_fma_f64 v[179:180], v[160:161], s[16:17], v[177:178]
	v_fma_f64 v[177:178], v[160:161], s[16:17], -v[177:178]
	;; [unrolled: 2-line block ×5, first 2 shown]
	v_add_f64 v[164:165], v[104:105], v[164:165]
	v_add_f64 v[162:163], v[104:105], v[162:163]
	;; [unrolled: 1-line block ×11, first 2 shown]
	v_fma_f64 v[207:208], v[160:161], s[36:37], v[154:155]
	v_add_f64 v[104:105], v[104:105], v[156:157]
	v_fma_f64 v[154:155], v[160:161], s[36:37], -v[154:155]
	v_add_f64 v[156:157], v[142:143], v[152:153]
	v_add_f64 v[142:143], v[142:143], -v[152:153]
	v_add_f64 v[171:172], v[106:107], v[171:172]
	v_add_f64 v[169:170], v[106:107], v[169:170]
	;; [unrolled: 1-line block ×13, first 2 shown]
	v_add_f64 v[144:145], v[144:145], -v[150:151]
	v_mul_f64 v[150:151], v[142:143], s[18:19]
	v_mul_f64 v[158:159], v[144:145], s[18:19]
	v_fma_f64 v[152:153], v[154:155], s[16:17], -v[150:151]
	v_fma_f64 v[150:151], v[154:155], s[16:17], v[150:151]
	v_fma_f64 v[160:161], v[156:157], s[16:17], v[158:159]
	v_add_f64 v[152:153], v[152:153], v[164:165]
	v_add_f64 v[150:151], v[150:151], v[162:163]
	v_mul_f64 v[162:163], v[142:143], s[6:7]
	v_fma_f64 v[158:159], v[156:157], s[16:17], -v[158:159]
	v_add_f64 v[160:161], v[160:161], v[171:172]
	v_fma_f64 v[164:165], v[154:155], s[8:9], -v[162:163]
	v_fma_f64 v[162:163], v[154:155], s[8:9], v[162:163]
	v_add_f64 v[158:159], v[158:159], v[169:170]
	v_mul_f64 v[169:170], v[144:145], s[6:7]
	v_add_f64 v[164:165], v[164:165], v[175:176]
	v_add_f64 v[162:163], v[162:163], v[173:174]
	v_mul_f64 v[173:174], v[142:143], s[34:35]
	v_fma_f64 v[171:172], v[156:157], s[8:9], v[169:170]
	v_fma_f64 v[169:170], v[156:157], s[8:9], -v[169:170]
	v_fma_f64 v[175:176], v[154:155], s[36:37], -v[173:174]
	v_fma_f64 v[173:174], v[154:155], s[36:37], v[173:174]
	v_add_f64 v[169:170], v[169:170], v[177:178]
	v_mul_f64 v[177:178], v[144:145], s[34:35]
	v_add_f64 v[171:172], v[171:172], v[179:180]
	v_add_f64 v[175:176], v[175:176], v[183:184]
	;; [unrolled: 1-line block ×3, first 2 shown]
	v_mul_f64 v[181:182], v[142:143], s[30:31]
	v_fma_f64 v[179:180], v[156:157], s[36:37], v[177:178]
	v_fma_f64 v[177:178], v[156:157], s[36:37], -v[177:178]
	v_fma_f64 v[183:184], v[154:155], s[22:23], -v[181:182]
	v_fma_f64 v[181:182], v[154:155], s[22:23], v[181:182]
	v_add_f64 v[177:178], v[177:178], v[185:186]
	v_mul_f64 v[185:186], v[144:145], s[30:31]
	v_add_f64 v[179:180], v[179:180], v[187:188]
	v_add_f64 v[183:184], v[183:184], v[191:192]
	;; [unrolled: 1-line block ×3, first 2 shown]
	v_mul_f64 v[189:190], v[142:143], s[14:15]
	v_fma_f64 v[187:188], v[156:157], s[22:23], v[185:186]
	v_fma_f64 v[185:186], v[156:157], s[22:23], -v[185:186]
	v_mul_f64 v[142:143], v[142:143], s[38:39]
	v_fma_f64 v[191:192], v[154:155], s[2:3], -v[189:190]
	v_fma_f64 v[189:190], v[154:155], s[2:3], v[189:190]
	v_add_f64 v[185:186], v[185:186], v[193:194]
	v_mul_f64 v[193:194], v[144:145], s[14:15]
	v_mul_f64 v[144:145], v[144:145], s[38:39]
	v_add_f64 v[187:188], v[187:188], v[195:196]
	v_add_f64 v[191:192], v[191:192], v[199:200]
	;; [unrolled: 1-line block ×3, first 2 shown]
	v_fma_f64 v[197:198], v[154:155], s[24:25], -v[142:143]
	v_fma_f64 v[142:143], v[154:155], s[24:25], v[142:143]
	v_fma_f64 v[199:200], v[156:157], s[24:25], v[144:145]
	;; [unrolled: 1-line block ×3, first 2 shown]
	v_fma_f64 v[193:194], v[156:157], s[2:3], -v[193:194]
	v_add_f64 v[197:198], v[197:198], v[205:206]
	v_add_f64 v[104:105], v[142:143], v[104:105]
	v_fma_f64 v[142:143], v[156:157], s[24:25], -v[144:145]
	v_add_f64 v[144:145], v[134:135], v[138:139]
	v_add_f64 v[134:135], v[134:135], -v[138:139]
	v_add_f64 v[193:194], v[193:194], v[201:202]
	v_add_f64 v[195:196], v[195:196], v[203:204]
	;; [unrolled: 1-line block ×5, first 2 shown]
	v_mul_f64 v[138:139], v[134:135], s[4:5]
	v_add_f64 v[140:141], v[140:141], -v[146:147]
	v_fma_f64 v[146:147], v[142:143], s[2:3], -v[138:139]
	v_fma_f64 v[138:139], v[142:143], s[2:3], v[138:139]
	v_add_f64 v[146:147], v[146:147], v[152:153]
	v_mul_f64 v[152:153], v[140:141], s[4:5]
	v_add_f64 v[138:139], v[138:139], v[150:151]
	v_fma_f64 v[154:155], v[144:145], s[2:3], v[152:153]
	v_fma_f64 v[150:151], v[144:145], s[2:3], -v[152:153]
	v_mul_f64 v[152:153], v[134:135], s[34:35]
	v_add_f64 v[154:155], v[154:155], v[160:161]
	v_add_f64 v[150:151], v[150:151], v[158:159]
	v_fma_f64 v[156:157], v[142:143], s[36:37], -v[152:153]
	v_fma_f64 v[152:153], v[142:143], s[36:37], v[152:153]
	v_mul_f64 v[158:159], v[140:141], s[34:35]
	v_add_f64 v[156:157], v[156:157], v[164:165]
	v_add_f64 v[152:153], v[152:153], v[162:163]
	v_mul_f64 v[162:163], v[134:135], s[28:29]
	v_fma_f64 v[160:161], v[144:145], s[36:37], v[158:159]
	v_fma_f64 v[158:159], v[144:145], s[36:37], -v[158:159]
	v_fma_f64 v[164:165], v[142:143], s[8:9], -v[162:163]
	v_fma_f64 v[162:163], v[142:143], s[8:9], v[162:163]
	v_add_f64 v[158:159], v[158:159], v[169:170]
	v_mul_f64 v[169:170], v[140:141], s[28:29]
	v_add_f64 v[160:161], v[160:161], v[171:172]
	v_add_f64 v[164:165], v[164:165], v[175:176]
	v_add_f64 v[162:163], v[162:163], v[173:174]
	v_mul_f64 v[173:174], v[134:135], s[38:39]
	v_fma_f64 v[171:172], v[144:145], s[8:9], v[169:170]
	v_fma_f64 v[169:170], v[144:145], s[8:9], -v[169:170]
	v_fma_f64 v[175:176], v[142:143], s[24:25], -v[173:174]
	v_fma_f64 v[173:174], v[142:143], s[24:25], v[173:174]
	v_add_f64 v[169:170], v[169:170], v[177:178]
	v_mul_f64 v[177:178], v[140:141], s[38:39]
	v_add_f64 v[171:172], v[171:172], v[179:180]
	v_add_f64 v[175:176], v[175:176], v[183:184]
	;; [unrolled: 1-line block ×3, first 2 shown]
	v_mul_f64 v[181:182], v[134:135], s[18:19]
	v_fma_f64 v[179:180], v[144:145], s[24:25], v[177:178]
	v_fma_f64 v[177:178], v[144:145], s[24:25], -v[177:178]
	v_mul_f64 v[134:135], v[134:135], s[20:21]
	v_fma_f64 v[183:184], v[142:143], s[16:17], -v[181:182]
	v_fma_f64 v[181:182], v[142:143], s[16:17], v[181:182]
	v_add_f64 v[177:178], v[177:178], v[185:186]
	v_mul_f64 v[185:186], v[140:141], s[18:19]
	v_mul_f64 v[140:141], v[140:141], s[20:21]
	v_add_f64 v[179:180], v[179:180], v[187:188]
	v_add_f64 v[183:184], v[183:184], v[191:192]
	;; [unrolled: 1-line block ×3, first 2 shown]
	v_fma_f64 v[189:190], v[142:143], s[22:23], -v[134:135]
	v_fma_f64 v[134:135], v[142:143], s[22:23], v[134:135]
	v_fma_f64 v[191:192], v[144:145], s[22:23], v[140:141]
	;; [unrolled: 1-line block ×3, first 2 shown]
	v_fma_f64 v[185:186], v[144:145], s[16:17], -v[185:186]
	v_add_f64 v[189:190], v[189:190], v[197:198]
	v_add_f64 v[104:105], v[134:135], v[104:105]
	v_fma_f64 v[134:135], v[144:145], s[22:23], -v[140:141]
	v_add_f64 v[140:141], v[128:129], v[132:133]
	v_add_f64 v[128:129], v[128:129], -v[132:133]
	v_add_f64 v[185:186], v[185:186], v[193:194]
	v_add_f64 v[187:188], v[187:188], v[195:196]
	;; [unrolled: 1-line block ×5, first 2 shown]
	v_add_f64 v[130:131], v[130:131], -v[136:137]
	v_mul_f64 v[132:133], v[128:129], s[6:7]
	v_mul_f64 v[142:143], v[130:131], s[6:7]
	v_fma_f64 v[136:137], v[134:135], s[8:9], -v[132:133]
	v_fma_f64 v[132:133], v[134:135], s[8:9], v[132:133]
	v_fma_f64 v[144:145], v[140:141], s[8:9], v[142:143]
	v_add_f64 v[136:137], v[136:137], v[146:147]
	v_add_f64 v[132:133], v[132:133], v[138:139]
	v_fma_f64 v[138:139], v[140:141], s[8:9], -v[142:143]
	v_mul_f64 v[142:143], v[128:129], s[30:31]
	v_add_f64 v[144:145], v[144:145], v[154:155]
	v_add_f64 v[138:139], v[138:139], v[150:151]
	v_fma_f64 v[146:147], v[134:135], s[22:23], -v[142:143]
	v_fma_f64 v[142:143], v[134:135], s[22:23], v[142:143]
	v_mul_f64 v[150:151], v[130:131], s[30:31]
	v_add_f64 v[146:147], v[146:147], v[156:157]
	v_add_f64 v[142:143], v[142:143], v[152:153]
	v_mul_f64 v[152:153], v[128:129], s[38:39]
	v_fma_f64 v[154:155], v[140:141], s[22:23], v[150:151]
	v_fma_f64 v[150:151], v[140:141], s[22:23], -v[150:151]
	v_fma_f64 v[156:157], v[134:135], s[24:25], -v[152:153]
	v_fma_f64 v[152:153], v[134:135], s[24:25], v[152:153]
	v_add_f64 v[150:151], v[150:151], v[158:159]
	v_mul_f64 v[158:159], v[130:131], s[38:39]
	v_add_f64 v[154:155], v[154:155], v[160:161]
	v_add_f64 v[156:157], v[156:157], v[164:165]
	;; [unrolled: 1-line block ×3, first 2 shown]
	v_mul_f64 v[162:163], v[128:129], s[4:5]
	v_fma_f64 v[160:161], v[140:141], s[24:25], v[158:159]
	v_fma_f64 v[158:159], v[140:141], s[24:25], -v[158:159]
	v_fma_f64 v[164:165], v[134:135], s[2:3], -v[162:163]
	v_fma_f64 v[162:163], v[134:135], s[2:3], v[162:163]
	v_add_f64 v[158:159], v[158:159], v[169:170]
	v_mul_f64 v[169:170], v[130:131], s[4:5]
	v_add_f64 v[160:161], v[160:161], v[171:172]
	v_add_f64 v[164:165], v[164:165], v[175:176]
	v_add_f64 v[162:163], v[162:163], v[173:174]
	v_mul_f64 v[173:174], v[128:129], s[42:43]
	v_fma_f64 v[171:172], v[140:141], s[2:3], v[169:170]
	v_fma_f64 v[169:170], v[140:141], s[2:3], -v[169:170]
	v_mul_f64 v[128:129], v[128:129], s[40:41]
	v_fma_f64 v[175:176], v[134:135], s[36:37], -v[173:174]
	v_fma_f64 v[173:174], v[134:135], s[36:37], v[173:174]
	v_add_f64 v[169:170], v[169:170], v[177:178]
	v_mul_f64 v[177:178], v[130:131], s[42:43]
	v_mul_f64 v[130:131], v[130:131], s[40:41]
	v_add_f64 v[171:172], v[171:172], v[179:180]
	v_add_f64 v[175:176], v[175:176], v[183:184]
	;; [unrolled: 1-line block ×3, first 2 shown]
	v_fma_f64 v[181:182], v[134:135], s[16:17], -v[128:129]
	v_fma_f64 v[128:129], v[134:135], s[16:17], v[128:129]
	v_add_f64 v[134:135], v[120:121], v[122:123]
	v_add_f64 v[120:121], v[120:121], -v[122:123]
	v_fma_f64 v[183:184], v[140:141], s[16:17], v[130:131]
	v_fma_f64 v[179:180], v[140:141], s[36:37], v[177:178]
	v_fma_f64 v[177:178], v[140:141], s[36:37], -v[177:178]
	v_add_f64 v[181:182], v[181:182], v[189:190]
	v_add_f64 v[104:105], v[128:129], v[104:105]
	v_fma_f64 v[128:129], v[140:141], s[16:17], -v[130:131]
	v_add_f64 v[130:131], v[124:125], v[126:127]
	v_mul_f64 v[122:123], v[120:121], s[20:21]
	v_add_f64 v[124:125], v[124:125], -v[126:127]
	v_add_f64 v[177:178], v[177:178], v[185:186]
	v_add_f64 v[179:180], v[179:180], v[187:188]
	;; [unrolled: 1-line block ×4, first 2 shown]
	v_fma_f64 v[126:127], v[130:131], s[22:23], -v[122:123]
	v_fma_f64 v[122:123], v[130:131], s[22:23], v[122:123]
	v_add_f64 v[136:137], v[126:127], v[136:137]
	v_mul_f64 v[126:127], v[124:125], s[20:21]
	v_add_f64 v[132:133], v[122:123], v[132:133]
	v_fma_f64 v[122:123], v[134:135], s[22:23], -v[126:127]
	v_fma_f64 v[128:129], v[134:135], s[22:23], v[126:127]
	v_add_f64 v[138:139], v[122:123], v[138:139]
	v_mul_f64 v[122:123], v[120:121], s[14:15]
	v_add_f64 v[140:141], v[128:129], v[144:145]
	;; [unrolled: 5-line block ×8, first 2 shown]
	v_mul_f64 v[120:121], v[120:121], s[6:7]
	v_fma_f64 v[126:127], v[130:131], s[24:25], -v[122:123]
	v_fma_f64 v[122:123], v[130:131], s[24:25], v[122:123]
	v_add_f64 v[171:172], v[126:127], v[175:176]
	v_mul_f64 v[126:127], v[124:125], s[38:39]
	v_add_f64 v[173:174], v[122:123], v[173:174]
	v_fma_f64 v[122:123], v[134:135], s[24:25], -v[126:127]
	v_fma_f64 v[128:129], v[134:135], s[24:25], v[126:127]
	v_add_f64 v[126:127], v[116:117], v[118:119]
	v_add_f64 v[177:178], v[122:123], v[177:178]
	v_fma_f64 v[122:123], v[130:131], s[8:9], -v[120:121]
	v_add_f64 v[175:176], v[128:129], v[179:180]
	v_fma_f64 v[120:121], v[130:131], s[8:9], v[120:121]
	v_add_f64 v[179:180], v[122:123], v[181:182]
	v_mul_f64 v[122:123], v[124:125], s[6:7]
	v_add_f64 v[181:182], v[116:117], -v[118:119]
	v_fma_f64 v[124:125], v[134:135], s[8:9], v[122:123]
	v_add_f64 v[128:129], v[124:125], v[183:184]
	v_add_f64 v[183:184], v[108:109], -v[110:111]
	v_add_f64 v[124:125], v[120:121], v[104:105]
	v_fma_f64 v[104:105], v[134:135], s[8:9], -v[122:123]
	v_add_f64 v[122:123], v[108:109], v[110:111]
	v_mul_f64 v[110:111], v[181:182], s[34:35]
	v_mul_f64 v[108:109], v[183:184], s[34:35]
	;; [unrolled: 1-line block ×3, first 2 shown]
	v_add_f64 v[120:121], v[104:105], v[106:107]
	v_fma_f64 v[106:107], v[122:123], s[36:37], v[110:111]
	v_fma_f64 v[110:111], v[122:123], s[36:37], -v[110:111]
	v_fma_f64 v[104:105], v[126:127], s[36:37], -v[108:109]
	v_fma_f64 v[108:109], v[126:127], s[36:37], v[108:109]
	v_fma_f64 v[116:117], v[126:127], s[24:25], -v[130:131]
	v_fma_f64 v[130:131], v[126:127], s[24:25], v[130:131]
	v_add_f64 v[106:107], v[106:107], v[140:141]
	v_add_f64 v[110:111], v[110:111], v[138:139]
	v_mul_f64 v[138:139], v[183:184], s[20:21]
	v_mul_f64 v[140:141], v[181:182], s[20:21]
	v_add_f64 v[104:105], v[104:105], v[136:137]
	v_add_f64 v[108:109], v[108:109], v[132:133]
	v_mul_f64 v[132:133], v[181:182], s[38:39]
	v_add_f64 v[130:131], v[130:131], v[142:143]
	v_add_f64 v[116:117], v[116:117], v[144:145]
	v_fma_f64 v[134:135], v[126:127], s[22:23], -v[138:139]
	v_fma_f64 v[138:139], v[126:127], s[22:23], v[138:139]
	v_fma_f64 v[136:137], v[122:123], s[22:23], v[140:141]
	v_fma_f64 v[140:141], v[122:123], s[22:23], -v[140:141]
	v_fma_f64 v[118:119], v[122:123], s[24:25], v[132:133]
	v_fma_f64 v[132:133], v[122:123], s[24:25], -v[132:133]
	v_add_f64 v[134:135], v[134:135], v[154:155]
	v_add_f64 v[138:139], v[138:139], v[152:153]
	v_mul_f64 v[152:153], v[181:182], s[40:41]
	v_add_f64 v[140:141], v[140:141], v[158:159]
	v_add_f64 v[136:137], v[136:137], v[156:157]
	;; [unrolled: 1-line block ×3, first 2 shown]
	v_mul_f64 v[146:147], v[183:184], s[40:41]
	v_add_f64 v[132:133], v[132:133], v[150:151]
	v_fma_f64 v[144:145], v[122:123], s[16:17], v[152:153]
	v_fma_f64 v[142:143], v[126:127], s[16:17], -v[146:147]
	v_fma_f64 v[146:147], v[126:127], s[16:17], v[146:147]
	v_add_f64 v[144:145], v[144:145], v[164:165]
	v_add_f64 v[142:143], v[142:143], v[160:161]
	;; [unrolled: 1-line block ×3, first 2 shown]
	v_fma_f64 v[146:147], v[122:123], s[16:17], -v[152:153]
	v_mul_f64 v[160:161], v[181:182], s[6:7]
	v_add_f64 v[152:153], v[146:147], v[169:170]
	v_mul_f64 v[146:147], v[183:184], s[6:7]
	v_fma_f64 v[156:157], v[122:123], s[8:9], v[160:161]
	v_mul_f64 v[169:170], v[181:182], s[14:15]
	v_fma_f64 v[154:155], v[126:127], s[8:9], -v[146:147]
	v_fma_f64 v[146:147], v[126:127], s[8:9], v[146:147]
	v_fma_f64 v[164:165], v[122:123], s[2:3], v[169:170]
	v_add_f64 v[156:157], v[156:157], v[175:176]
	v_add_f64 v[154:155], v[154:155], v[171:172]
	;; [unrolled: 1-line block ×3, first 2 shown]
	v_fma_f64 v[146:147], v[122:123], s[8:9], -v[160:161]
	v_fma_f64 v[122:123], v[122:123], s[2:3], -v[169:170]
	v_add_f64 v[164:165], v[164:165], v[128:129]
	v_add_f64 v[160:161], v[146:147], v[177:178]
	v_mul_f64 v[146:147], v[183:184], s[14:15]
	v_fma_f64 v[162:163], v[126:127], s[2:3], -v[146:147]
	v_fma_f64 v[126:127], v[126:127], s[2:3], v[146:147]
	v_add_f64 v[162:163], v[162:163], v[179:180]
	v_add_f64 v[124:125], v[126:127], v[124:125]
	;; [unrolled: 1-line block ×3, first 2 shown]
	ds_write_b128 v166, v[100:103]
	ds_write_b128 v166, v[104:107] offset:208
	ds_write_b128 v166, v[116:119] offset:416
	;; [unrolled: 1-line block ×12, first 2 shown]
	s_waitcnt lgkmcnt(0)
	s_barrier
	buffer_gl0_inv
	global_load_dwordx4 v[104:107], v[114:115], off offset:656
	ds_read_b128 v[100:103], v166
	v_add_co_u32 v116, vcc_lo, 0xa90, v148
	v_add_co_ci_u32_e32 v117, vcc_lo, 0, v149, vcc_lo
	v_add_co_u32 v114, vcc_lo, 0x1000, v148
	v_add_co_ci_u32_e32 v115, vcc_lo, 0, v149, vcc_lo
	s_waitcnt vmcnt(0) lgkmcnt(0)
	v_mul_f64 v[108:109], v[102:103], v[106:107]
	v_fma_f64 v[108:109], v[100:101], v[104:105], -v[108:109]
	v_mul_f64 v[100:101], v[100:101], v[106:107]
	v_fma_f64 v[110:111], v[102:103], v[104:105], v[100:101]
	global_load_dwordx4 v[104:107], v[116:117], off offset:208
	ds_read_b128 v[100:103], v166 offset:208
	ds_write_b128 v166, v[108:111]
	s_waitcnt vmcnt(0) lgkmcnt(1)
	v_mul_f64 v[108:109], v[102:103], v[106:107]
	v_fma_f64 v[108:109], v[100:101], v[104:105], -v[108:109]
	v_mul_f64 v[100:101], v[100:101], v[106:107]
	v_fma_f64 v[110:111], v[102:103], v[104:105], v[100:101]
	global_load_dwordx4 v[104:107], v[116:117], off offset:416
	ds_read_b128 v[100:103], v166 offset:416
	ds_write_b128 v166, v[108:111] offset:208
	s_waitcnt vmcnt(0) lgkmcnt(1)
	v_mul_f64 v[108:109], v[102:103], v[106:107]
	v_fma_f64 v[108:109], v[100:101], v[104:105], -v[108:109]
	v_mul_f64 v[100:101], v[100:101], v[106:107]
	v_fma_f64 v[110:111], v[102:103], v[104:105], v[100:101]
	global_load_dwordx4 v[104:107], v[116:117], off offset:624
	ds_read_b128 v[100:103], v166 offset:624
	ds_write_b128 v166, v[108:111] offset:416
	;; [unrolled: 8-line block ×11, first 2 shown]
	s_waitcnt vmcnt(0) lgkmcnt(1)
	v_mul_f64 v[108:109], v[102:103], v[106:107]
	v_fma_f64 v[108:109], v[100:101], v[104:105], -v[108:109]
	v_mul_f64 v[100:101], v[100:101], v[106:107]
	v_fma_f64 v[110:111], v[102:103], v[104:105], v[100:101]
	ds_write_b128 v166, v[108:111] offset:2496
	s_waitcnt lgkmcnt(0)
	s_barrier
	buffer_gl0_inv
	ds_read_b128 v[114:117], v166
	ds_read_b128 v[118:121], v166 offset:208
	ds_read_b128 v[122:125], v166 offset:416
	;; [unrolled: 1-line block ×12, first 2 shown]
	s_waitcnt lgkmcnt(0)
	s_barrier
	buffer_gl0_inv
	v_add_f64 v[100:101], v[114:115], v[118:119]
	v_add_f64 v[102:103], v[116:117], v[120:121]
	;; [unrolled: 1-line block ×3, first 2 shown]
	v_add_f64 v[120:121], v[120:121], -v[156:157]
	v_add_f64 v[158:159], v[118:119], v[154:155]
	v_add_f64 v[118:119], v[118:119], -v[154:155]
	v_add_f64 v[100:101], v[100:101], v[122:123]
	v_add_f64 v[102:103], v[102:103], v[124:125]
	v_mul_f64 v[162:163], v[160:161], s[24:25]
	v_mul_f64 v[169:170], v[120:121], s[18:19]
	;; [unrolled: 1-line block ×10, first 2 shown]
	v_add_f64 v[100:101], v[100:101], v[126:127]
	v_add_f64 v[102:103], v[102:103], v[128:129]
	v_fma_f64 v[164:165], v[118:119], s[38:39], v[162:163]
	v_fma_f64 v[171:172], v[158:159], s[16:17], v[169:170]
	v_fma_f64 v[169:170], v[158:159], s[16:17], -v[169:170]
	v_fma_f64 v[179:180], v[158:159], s[2:3], v[177:178]
	v_fma_f64 v[177:178], v[158:159], s[2:3], -v[177:178]
	;; [unrolled: 2-line block ×4, first 2 shown]
	v_fma_f64 v[162:163], v[118:119], s[26:27], v[162:163]
	v_fma_f64 v[175:176], v[118:119], s[40:41], v[173:174]
	v_add_f64 v[100:101], v[100:101], v[130:131]
	v_add_f64 v[102:103], v[102:103], v[132:133]
	v_fma_f64 v[173:174], v[118:119], s[18:19], v[173:174]
	v_fma_f64 v[183:184], v[118:119], s[14:15], v[181:182]
	;; [unrolled: 1-line block ×9, first 2 shown]
	v_add_f64 v[164:165], v[116:117], v[164:165]
	v_add_f64 v[171:172], v[114:115], v[171:172]
	;; [unrolled: 1-line block ×23, first 2 shown]
	v_add_f64 v[122:123], v[122:123], -v[150:151]
	v_add_f64 v[100:101], v[100:101], v[104:105]
	v_add_f64 v[102:103], v[102:103], v[106:107]
	;; [unrolled: 1-line block ×13, first 2 shown]
	v_mul_f64 v[154:155], v[120:121], s[26:27]
	v_mul_f64 v[120:121], v[120:121], s[34:35]
	v_add_f64 v[102:103], v[102:103], v[156:157]
	v_fma_f64 v[156:157], v[158:159], s[24:25], v[154:155]
	v_fma_f64 v[154:155], v[158:159], s[24:25], -v[154:155]
	v_fma_f64 v[201:202], v[158:159], s[36:37], v[120:121]
	v_fma_f64 v[120:121], v[158:159], s[36:37], -v[120:121]
	v_add_f64 v[156:157], v[114:115], v[156:157]
	v_add_f64 v[154:155], v[114:115], v[154:155]
	;; [unrolled: 1-line block ×5, first 2 shown]
	v_add_f64 v[124:125], v[124:125], -v[152:153]
	v_mul_f64 v[150:151], v[124:125], s[18:19]
	v_fma_f64 v[152:153], v[118:119], s[16:17], v[150:151]
	v_fma_f64 v[150:151], v[118:119], s[16:17], -v[150:151]
	v_add_f64 v[152:153], v[152:153], v[156:157]
	v_mul_f64 v[156:157], v[120:121], s[16:17]
	v_add_f64 v[150:151], v[150:151], v[154:155]
	v_fma_f64 v[158:159], v[122:123], s[40:41], v[156:157]
	v_fma_f64 v[154:155], v[122:123], s[18:19], v[156:157]
	v_mul_f64 v[156:157], v[124:125], s[6:7]
	v_add_f64 v[158:159], v[158:159], v[164:165]
	v_add_f64 v[154:155], v[154:155], v[162:163]
	v_fma_f64 v[160:161], v[118:119], s[8:9], v[156:157]
	v_fma_f64 v[156:157], v[118:119], s[8:9], -v[156:157]
	v_mul_f64 v[162:163], v[120:121], s[8:9]
	v_add_f64 v[160:161], v[160:161], v[171:172]
	v_add_f64 v[156:157], v[156:157], v[169:170]
	v_mul_f64 v[169:170], v[124:125], s[34:35]
	v_fma_f64 v[164:165], v[122:123], s[28:29], v[162:163]
	v_fma_f64 v[162:163], v[122:123], s[6:7], v[162:163]
	;; [unrolled: 1-line block ×3, first 2 shown]
	v_fma_f64 v[169:170], v[118:119], s[36:37], -v[169:170]
	v_add_f64 v[162:163], v[162:163], v[173:174]
	v_mul_f64 v[173:174], v[120:121], s[36:37]
	v_add_f64 v[164:165], v[164:165], v[175:176]
	v_add_f64 v[171:172], v[171:172], v[179:180]
	;; [unrolled: 1-line block ×3, first 2 shown]
	v_mul_f64 v[177:178], v[124:125], s[30:31]
	v_fma_f64 v[175:176], v[122:123], s[42:43], v[173:174]
	v_fma_f64 v[173:174], v[122:123], s[34:35], v[173:174]
	;; [unrolled: 1-line block ×3, first 2 shown]
	v_fma_f64 v[177:178], v[118:119], s[22:23], -v[177:178]
	v_add_f64 v[173:174], v[173:174], v[181:182]
	v_mul_f64 v[181:182], v[120:121], s[22:23]
	v_add_f64 v[175:176], v[175:176], v[183:184]
	v_add_f64 v[179:180], v[179:180], v[187:188]
	;; [unrolled: 1-line block ×3, first 2 shown]
	v_mul_f64 v[185:186], v[124:125], s[14:15]
	v_fma_f64 v[183:184], v[122:123], s[20:21], v[181:182]
	v_fma_f64 v[181:182], v[122:123], s[30:31], v[181:182]
	v_mul_f64 v[124:125], v[124:125], s[38:39]
	v_fma_f64 v[187:188], v[118:119], s[2:3], v[185:186]
	v_fma_f64 v[185:186], v[118:119], s[2:3], -v[185:186]
	v_add_f64 v[181:182], v[181:182], v[189:190]
	v_mul_f64 v[189:190], v[120:121], s[2:3]
	v_mul_f64 v[120:121], v[120:121], s[24:25]
	v_add_f64 v[183:184], v[183:184], v[191:192]
	v_add_f64 v[187:188], v[187:188], v[195:196]
	;; [unrolled: 1-line block ×3, first 2 shown]
	v_fma_f64 v[193:194], v[118:119], s[24:25], v[124:125]
	v_fma_f64 v[118:119], v[118:119], s[24:25], -v[124:125]
	v_add_f64 v[124:125], v[128:129], -v[148:149]
	v_fma_f64 v[191:192], v[122:123], s[4:5], v[189:190]
	v_fma_f64 v[189:190], v[122:123], s[14:15], v[189:190]
	;; [unrolled: 1-line block ×3, first 2 shown]
	v_add_f64 v[193:194], v[193:194], v[201:202]
	v_add_f64 v[114:115], v[118:119], v[114:115]
	v_fma_f64 v[118:119], v[122:123], s[38:39], v[120:121]
	v_add_f64 v[122:123], v[126:127], -v[146:147]
	v_add_f64 v[120:121], v[128:129], v[148:149]
	v_add_f64 v[189:190], v[189:190], v[197:198]
	;; [unrolled: 1-line block ×6, first 2 shown]
	v_mul_f64 v[126:127], v[124:125], s[4:5]
	v_mul_f64 v[146:147], v[120:121], s[2:3]
	v_fma_f64 v[128:129], v[118:119], s[2:3], v[126:127]
	v_fma_f64 v[126:127], v[118:119], s[2:3], -v[126:127]
	v_fma_f64 v[148:149], v[122:123], s[14:15], v[146:147]
	v_fma_f64 v[146:147], v[122:123], s[4:5], v[146:147]
	v_add_f64 v[128:129], v[128:129], v[152:153]
	v_add_f64 v[126:127], v[126:127], v[150:151]
	v_mul_f64 v[150:151], v[124:125], s[34:35]
	v_add_f64 v[146:147], v[146:147], v[154:155]
	v_mul_f64 v[154:155], v[120:121], s[36:37]
	v_add_f64 v[148:149], v[148:149], v[158:159]
	v_fma_f64 v[152:153], v[118:119], s[36:37], v[150:151]
	v_fma_f64 v[150:151], v[118:119], s[36:37], -v[150:151]
	v_fma_f64 v[158:159], v[122:123], s[42:43], v[154:155]
	v_fma_f64 v[154:155], v[122:123], s[34:35], v[154:155]
	v_add_f64 v[152:153], v[152:153], v[160:161]
	v_add_f64 v[150:151], v[150:151], v[156:157]
	v_mul_f64 v[156:157], v[124:125], s[28:29]
	v_add_f64 v[154:155], v[154:155], v[162:163]
	v_mul_f64 v[162:163], v[120:121], s[8:9]
	v_add_f64 v[158:159], v[158:159], v[164:165]
	;; [unrolled: 10-line block ×3, first 2 shown]
	v_fma_f64 v[171:172], v[118:119], s[24:25], v[169:170]
	v_fma_f64 v[169:170], v[118:119], s[24:25], -v[169:170]
	v_fma_f64 v[175:176], v[122:123], s[26:27], v[173:174]
	v_fma_f64 v[173:174], v[122:123], s[38:39], v[173:174]
	v_add_f64 v[171:172], v[171:172], v[179:180]
	v_add_f64 v[169:170], v[169:170], v[177:178]
	v_mul_f64 v[177:178], v[124:125], s[18:19]
	v_mul_f64 v[124:125], v[124:125], s[20:21]
	v_add_f64 v[173:174], v[173:174], v[181:182]
	v_mul_f64 v[181:182], v[120:121], s[16:17]
	v_mul_f64 v[120:121], v[120:121], s[22:23]
	v_add_f64 v[175:176], v[175:176], v[183:184]
	v_fma_f64 v[179:180], v[118:119], s[16:17], v[177:178]
	v_fma_f64 v[177:178], v[118:119], s[16:17], -v[177:178]
	v_fma_f64 v[183:184], v[122:123], s[40:41], v[181:182]
	v_fma_f64 v[181:182], v[122:123], s[18:19], v[181:182]
	v_add_f64 v[179:180], v[179:180], v[187:188]
	v_add_f64 v[177:178], v[177:178], v[185:186]
	v_fma_f64 v[185:186], v[118:119], s[22:23], v[124:125]
	v_fma_f64 v[118:119], v[118:119], s[22:23], -v[124:125]
	v_add_f64 v[124:125], v[132:133], -v[144:145]
	v_fma_f64 v[187:188], v[122:123], s[30:31], v[120:121]
	v_add_f64 v[181:182], v[181:182], v[189:190]
	v_add_f64 v[183:184], v[183:184], v[191:192]
	;; [unrolled: 1-line block ×4, first 2 shown]
	v_fma_f64 v[118:119], v[122:123], s[20:21], v[120:121]
	v_add_f64 v[122:123], v[130:131], -v[142:143]
	v_add_f64 v[120:121], v[132:133], v[144:145]
	v_add_f64 v[187:188], v[187:188], v[195:196]
	v_add_f64 v[195:196], v[134:135], -v[138:139]
	v_add_f64 v[116:117], v[118:119], v[116:117]
	v_add_f64 v[118:119], v[130:131], v[142:143]
	v_mul_f64 v[130:131], v[124:125], s[6:7]
	v_fma_f64 v[132:133], v[118:119], s[8:9], v[130:131]
	v_fma_f64 v[130:131], v[118:119], s[8:9], -v[130:131]
	v_add_f64 v[128:129], v[132:133], v[128:129]
	v_mul_f64 v[132:133], v[120:121], s[8:9]
	v_add_f64 v[126:127], v[130:131], v[126:127]
	v_fma_f64 v[142:143], v[122:123], s[28:29], v[132:133]
	v_fma_f64 v[130:131], v[122:123], s[6:7], v[132:133]
	v_mul_f64 v[132:133], v[124:125], s[30:31]
	v_add_f64 v[142:143], v[142:143], v[148:149]
	v_add_f64 v[130:131], v[130:131], v[146:147]
	v_fma_f64 v[144:145], v[118:119], s[22:23], v[132:133]
	v_fma_f64 v[132:133], v[118:119], s[22:23], -v[132:133]
	v_mul_f64 v[146:147], v[120:121], s[22:23]
	v_add_f64 v[144:145], v[144:145], v[152:153]
	v_add_f64 v[132:133], v[132:133], v[150:151]
	v_mul_f64 v[150:151], v[124:125], s[38:39]
	v_fma_f64 v[148:149], v[122:123], s[20:21], v[146:147]
	v_fma_f64 v[146:147], v[122:123], s[30:31], v[146:147]
	;; [unrolled: 1-line block ×3, first 2 shown]
	v_fma_f64 v[150:151], v[118:119], s[24:25], -v[150:151]
	v_add_f64 v[146:147], v[146:147], v[154:155]
	v_add_f64 v[148:149], v[148:149], v[158:159]
	;; [unrolled: 1-line block ×3, first 2 shown]
	v_mul_f64 v[152:153], v[120:121], s[24:25]
	v_add_f64 v[191:192], v[150:151], v[156:157]
	v_fma_f64 v[150:151], v[122:123], s[38:39], v[152:153]
	v_fma_f64 v[154:155], v[122:123], s[26:27], v[152:153]
	v_add_f64 v[162:163], v[150:151], v[162:163]
	v_mul_f64 v[150:151], v[124:125], s[4:5]
	v_add_f64 v[164:165], v[154:155], v[164:165]
	v_fma_f64 v[152:153], v[118:119], s[2:3], v[150:151]
	v_fma_f64 v[150:151], v[118:119], s[2:3], -v[150:151]
	v_add_f64 v[171:172], v[152:153], v[171:172]
	v_mul_f64 v[152:153], v[120:121], s[2:3]
	v_add_f64 v[169:170], v[150:151], v[169:170]
	v_fma_f64 v[150:151], v[122:123], s[4:5], v[152:153]
	v_fma_f64 v[154:155], v[122:123], s[14:15], v[152:153]
	v_add_f64 v[173:174], v[150:151], v[173:174]
	v_mul_f64 v[150:151], v[124:125], s[42:43]
	v_mul_f64 v[124:125], v[124:125], s[40:41]
	v_add_f64 v[175:176], v[154:155], v[175:176]
	v_fma_f64 v[152:153], v[118:119], s[36:37], v[150:151]
	v_fma_f64 v[150:151], v[118:119], s[36:37], -v[150:151]
	v_add_f64 v[179:180], v[152:153], v[179:180]
	v_mul_f64 v[152:153], v[120:121], s[36:37]
	v_add_f64 v[177:178], v[150:151], v[177:178]
	v_mul_f64 v[120:121], v[120:121], s[16:17]
	v_fma_f64 v[150:151], v[122:123], s[42:43], v[152:153]
	v_fma_f64 v[154:155], v[122:123], s[34:35], v[152:153]
	v_add_f64 v[181:182], v[150:151], v[181:182]
	v_fma_f64 v[150:151], v[118:119], s[16:17], v[124:125]
	v_fma_f64 v[118:119], v[118:119], s[16:17], -v[124:125]
	v_add_f64 v[183:184], v[154:155], v[183:184]
	v_add_f64 v[185:186], v[150:151], v[185:186]
	v_fma_f64 v[150:151], v[122:123], s[18:19], v[120:121]
	v_add_f64 v[114:115], v[118:119], v[114:115]
	v_fma_f64 v[118:119], v[122:123], s[40:41], v[120:121]
	v_add_f64 v[120:121], v[136:137], -v[140:141]
	v_add_f64 v[187:188], v[150:151], v[187:188]
	v_add_f64 v[193:194], v[118:119], v[116:117]
	;; [unrolled: 1-line block ×3, first 2 shown]
	v_mul_f64 v[122:123], v[120:121], s[20:21]
	v_add_f64 v[118:119], v[136:137], v[140:141]
	v_fma_f64 v[124:125], v[116:117], s[22:23], v[122:123]
	v_fma_f64 v[122:123], v[116:117], s[22:23], -v[122:123]
	v_add_f64 v[154:155], v[124:125], v[128:129]
	v_mul_f64 v[124:125], v[118:119], s[22:23]
	v_add_f64 v[158:159], v[122:123], v[126:127]
	v_fma_f64 v[122:123], v[195:196], s[20:21], v[124:125]
	v_fma_f64 v[128:129], v[195:196], s[30:31], v[124:125]
	v_add_f64 v[160:161], v[122:123], v[130:131]
	v_mul_f64 v[122:123], v[120:121], s[14:15]
	v_add_f64 v[156:157], v[128:129], v[142:143]
	v_fma_f64 v[124:125], v[116:117], s[2:3], v[122:123]
	v_fma_f64 v[122:123], v[116:117], s[2:3], -v[122:123]
	v_add_f64 v[150:151], v[124:125], v[144:145]
	v_mul_f64 v[124:125], v[118:119], s[2:3]
	v_fma_f64 v[126:127], v[195:196], s[4:5], v[124:125]
	v_add_f64 v[152:153], v[126:127], v[148:149]
	v_add_f64 v[148:149], v[122:123], v[132:133]
	v_fma_f64 v[122:123], v[195:196], s[14:15], v[124:125]
	v_add_f64 v[146:147], v[122:123], v[146:147]
	v_mul_f64 v[122:123], v[120:121], s[18:19]
	v_fma_f64 v[124:125], v[116:117], s[16:17], v[122:123]
	v_fma_f64 v[122:123], v[116:117], s[16:17], -v[122:123]
	v_add_f64 v[142:143], v[124:125], v[189:190]
	v_mul_f64 v[124:125], v[118:119], s[16:17]
	v_add_f64 v[140:141], v[122:123], v[191:192]
	v_fma_f64 v[122:123], v[195:196], s[18:19], v[124:125]
	v_fma_f64 v[126:127], v[195:196], s[40:41], v[124:125]
	v_add_f64 v[138:139], v[122:123], v[162:163]
	v_mul_f64 v[122:123], v[120:121], s[42:43]
	v_add_f64 v[144:145], v[126:127], v[164:165]
	v_mul_f64 v[162:163], v[118:119], s[24:25]
	v_mul_f64 v[164:165], v[118:119], s[8:9]
	v_fma_f64 v[124:125], v[116:117], s[36:37], v[122:123]
	v_fma_f64 v[122:123], v[116:117], s[36:37], -v[122:123]
	v_add_f64 v[134:135], v[124:125], v[171:172]
	v_mul_f64 v[124:125], v[118:119], s[36:37]
	v_add_f64 v[132:133], v[122:123], v[169:170]
	v_fma_f64 v[118:119], v[195:196], s[28:29], v[164:165]
	v_fma_f64 v[122:123], v[195:196], s[42:43], v[124:125]
	;; [unrolled: 1-line block ×3, first 2 shown]
	v_add_f64 v[118:119], v[118:119], v[187:188]
	v_add_f64 v[130:131], v[122:123], v[173:174]
	v_mul_f64 v[122:123], v[120:121], s[38:39]
	v_add_f64 v[136:137], v[126:127], v[175:176]
	v_fma_f64 v[124:125], v[116:117], s[24:25], v[122:123]
	v_fma_f64 v[122:123], v[116:117], s[24:25], -v[122:123]
	v_add_f64 v[126:127], v[124:125], v[179:180]
	v_fma_f64 v[124:125], v[195:196], s[26:27], v[162:163]
	v_add_f64 v[128:129], v[124:125], v[183:184]
	v_add_f64 v[124:125], v[122:123], v[177:178]
	v_fma_f64 v[122:123], v[195:196], s[38:39], v[162:163]
	v_mul_f64 v[162:163], v[120:121], s[6:7]
	v_add_f64 v[122:123], v[122:123], v[181:182]
	v_fma_f64 v[120:121], v[116:117], s[8:9], v[162:163]
	v_fma_f64 v[116:117], v[116:117], s[8:9], -v[162:163]
	v_add_f64 v[162:163], v[104:105], v[108:109]
	v_add_f64 v[104:105], v[104:105], -v[108:109]
	v_add_f64 v[120:121], v[120:121], v[185:186]
	v_add_f64 v[116:117], v[116:117], v[114:115]
	v_fma_f64 v[114:115], v[195:196], s[6:7], v[164:165]
	v_add_f64 v[164:165], v[106:107], v[110:111]
	v_add_f64 v[106:107], v[106:107], -v[110:111]
	v_add_f64 v[114:115], v[114:115], v[193:194]
	v_mul_f64 v[171:172], v[164:165], s[36:37]
	v_mul_f64 v[169:170], v[106:107], s[34:35]
	v_fma_f64 v[110:111], v[104:105], s[42:43], v[171:172]
	v_fma_f64 v[108:109], v[162:163], s[36:37], v[169:170]
	v_add_f64 v[110:111], v[110:111], v[156:157]
	v_add_f64 v[108:109], v[108:109], v[154:155]
	v_fma_f64 v[154:155], v[162:163], s[36:37], -v[169:170]
	v_fma_f64 v[156:157], v[104:105], s[34:35], v[171:172]
	v_add_f64 v[154:155], v[154:155], v[158:159]
	v_mul_f64 v[158:159], v[106:107], s[38:39]
	v_add_f64 v[156:157], v[156:157], v[160:161]
	v_fma_f64 v[160:161], v[162:163], s[24:25], v[158:159]
	v_fma_f64 v[158:159], v[162:163], s[24:25], -v[158:159]
	v_add_f64 v[150:151], v[160:161], v[150:151]
	v_mul_f64 v[160:161], v[164:165], s[24:25]
	v_add_f64 v[158:159], v[158:159], v[148:149]
	v_fma_f64 v[148:149], v[104:105], s[38:39], v[160:161]
	v_fma_f64 v[169:170], v[104:105], s[26:27], v[160:161]
	v_add_f64 v[160:161], v[148:149], v[146:147]
	v_mul_f64 v[146:147], v[106:107], s[20:21]
	v_add_f64 v[152:153], v[169:170], v[152:153]
	v_fma_f64 v[148:149], v[162:163], s[22:23], v[146:147]
	v_fma_f64 v[146:147], v[162:163], s[22:23], -v[146:147]
	v_add_f64 v[142:143], v[148:149], v[142:143]
	v_mul_f64 v[148:149], v[164:165], s[22:23]
	v_add_f64 v[146:147], v[146:147], v[140:141]
	v_fma_f64 v[140:141], v[104:105], s[20:21], v[148:149]
	;; [unrolled: 10-line block ×3, first 2 shown]
	v_fma_f64 v[169:170], v[104:105], s[18:19], v[140:141]
	v_add_f64 v[140:141], v[132:133], v[130:131]
	v_mul_f64 v[130:131], v[106:107], s[6:7]
	v_mul_f64 v[106:107], v[106:107], s[14:15]
	v_add_f64 v[136:137], v[169:170], v[136:137]
	v_fma_f64 v[132:133], v[162:163], s[8:9], v[130:131]
	v_fma_f64 v[130:131], v[162:163], s[8:9], -v[130:131]
	v_add_f64 v[126:127], v[132:133], v[126:127]
	v_mul_f64 v[132:133], v[164:165], s[8:9]
	v_add_f64 v[130:131], v[130:131], v[124:125]
	v_fma_f64 v[124:125], v[104:105], s[6:7], v[132:133]
	v_fma_f64 v[169:170], v[104:105], s[28:29], v[132:133]
	v_add_f64 v[132:133], v[124:125], v[122:123]
	v_fma_f64 v[122:123], v[162:163], s[2:3], v[106:107]
	v_mul_f64 v[124:125], v[164:165], s[2:3]
	v_fma_f64 v[106:107], v[162:163], s[2:3], -v[106:107]
	v_add_f64 v[128:129], v[169:170], v[128:129]
	v_add_f64 v[120:121], v[122:123], v[120:121]
	v_fma_f64 v[122:123], v[104:105], s[4:5], v[124:125]
	v_fma_f64 v[104:105], v[104:105], s[14:15], v[124:125]
	v_add_f64 v[116:117], v[106:107], v[116:117]
	v_add_f64 v[122:123], v[122:123], v[118:119]
	;; [unrolled: 1-line block ×3, first 2 shown]
	ds_write_b128 v168, v[100:103]
	ds_write_b128 v168, v[108:111] offset:16
	ds_write_b128 v168, v[150:153] offset:32
	;; [unrolled: 1-line block ×12, first 2 shown]
	s_waitcnt lgkmcnt(0)
	s_barrier
	buffer_gl0_inv
	ds_read_b128 v[102:105], v166
	ds_read_b128 v[106:109], v166 offset:208
	ds_read_b128 v[114:117], v166 offset:416
	;; [unrolled: 1-line block ×12, first 2 shown]
	s_waitcnt lgkmcnt(11)
	v_mul_f64 v[100:101], v[78:79], v[108:109]
	v_mul_f64 v[78:79], v[78:79], v[106:107]
	v_fma_f64 v[110:111], v[76:77], v[106:107], v[100:101]
	v_fma_f64 v[106:107], v[76:77], v[108:109], -v[78:79]
	s_waitcnt lgkmcnt(10)
	v_mul_f64 v[76:77], v[62:63], v[116:117]
	v_mul_f64 v[62:63], v[62:63], v[114:115]
	v_fma_f64 v[108:109], v[60:61], v[114:115], v[76:77]
	v_fma_f64 v[114:115], v[60:61], v[116:117], -v[62:63]
	;; [unrolled: 5-line block ×4, first 2 shown]
	s_waitcnt lgkmcnt(7)
	v_mul_f64 v[52:53], v[90:91], v[128:129]
	v_add_f64 v[54:55], v[104:105], v[106:107]
	v_fma_f64 v[78:79], v[88:89], v[126:127], v[52:53]
	v_mul_f64 v[52:53], v[90:91], v[126:127]
	v_add_f64 v[54:55], v[54:55], v[114:115]
	v_fma_f64 v[76:77], v[88:89], v[128:129], -v[52:53]
	s_waitcnt lgkmcnt(6)
	v_mul_f64 v[52:53], v[82:83], v[132:133]
	v_add_f64 v[54:55], v[54:55], v[118:119]
	v_fma_f64 v[60:61], v[80:81], v[130:131], v[52:53]
	v_mul_f64 v[52:53], v[82:83], v[130:131]
	v_add_f64 v[54:55], v[54:55], v[100:101]
	v_fma_f64 v[56:57], v[80:81], v[132:133], -v[52:53]
	;; [unrolled: 7-line block ×3, first 2 shown]
	s_waitcnt lgkmcnt(4)
	v_mul_f64 v[52:53], v[66:67], v[140:141]
	v_add_f64 v[54:55], v[54:55], v[58:59]
	v_fma_f64 v[68:69], v[64:65], v[138:139], v[52:53]
	v_mul_f64 v[52:53], v[66:67], v[138:139]
	v_fma_f64 v[64:65], v[64:65], v[140:141], -v[52:53]
	s_waitcnt lgkmcnt(3)
	v_mul_f64 v[52:53], v[98:99], v[144:145]
	v_add_f64 v[54:55], v[54:55], v[64:65]
	v_fma_f64 v[66:67], v[96:97], v[142:143], v[52:53]
	v_mul_f64 v[52:53], v[98:99], v[142:143]
	v_fma_f64 v[70:71], v[96:97], v[144:145], -v[52:53]
	;; [unrolled: 6-line block ×4, first 2 shown]
	s_waitcnt lgkmcnt(0)
	v_mul_f64 v[52:53], v[74:75], v[156:157]
	v_add_f64 v[54:55], v[54:55], v[84:85]
	v_fma_f64 v[86:87], v[72:73], v[154:155], v[52:53]
	v_mul_f64 v[52:53], v[74:75], v[154:155]
	v_add_f64 v[74:75], v[110:111], v[86:87]
	v_fma_f64 v[72:73], v[72:73], v[156:157], -v[52:53]
	v_add_f64 v[52:53], v[102:103], v[110:111]
	v_add_f64 v[54:55], v[54:55], v[72:73]
	;; [unrolled: 1-line block ×4, first 2 shown]
	v_add_f64 v[72:73], v[106:107], -v[72:73]
	v_add_f64 v[52:53], v[52:53], v[116:117]
	v_mul_f64 v[96:97], v[90:91], s[24:25]
	v_mul_f64 v[92:93], v[72:73], s[26:27]
	;; [unrolled: 1-line block ×12, first 2 shown]
	v_add_f64 v[52:53], v[52:53], v[120:121]
	v_fma_f64 v[94:95], v[74:75], s[24:25], v[92:93]
	v_fma_f64 v[92:93], v[74:75], s[24:25], -v[92:93]
	v_fma_f64 v[128:129], v[74:75], s[2:3], v[126:127]
	v_fma_f64 v[126:127], v[74:75], s[2:3], -v[126:127]
	;; [unrolled: 2-line block ×5, first 2 shown]
	v_add_f64 v[52:53], v[52:53], v[78:79]
	v_add_f64 v[94:95], v[102:103], v[94:95]
	;; [unrolled: 1-line block ×18, first 2 shown]
	v_add_f64 v[86:87], v[110:111], -v[86:87]
	v_fma_f64 v[110:111], v[74:75], s[16:17], v[106:107]
	v_fma_f64 v[106:107], v[74:75], s[16:17], -v[106:107]
	v_fma_f64 v[152:153], v[86:87], s[42:43], v[90:91]
	v_fma_f64 v[74:75], v[86:87], s[34:35], v[90:91]
	v_add_f64 v[90:91], v[114:115], v[84:85]
	v_add_f64 v[84:85], v[114:115], -v[84:85]
	v_fma_f64 v[98:99], v[86:87], s[38:39], v[96:97]
	v_fma_f64 v[96:97], v[86:87], s[26:27], v[96:97]
	v_add_f64 v[110:111], v[102:103], v[110:111]
	v_fma_f64 v[124:125], v[86:87], s[40:41], v[122:123]
	v_add_f64 v[106:107], v[102:103], v[106:107]
	v_fma_f64 v[122:123], v[86:87], s[18:19], v[122:123]
	v_fma_f64 v[132:133], v[86:87], s[14:15], v[130:131]
	;; [unrolled: 1-line block ×7, first 2 shown]
	v_add_f64 v[86:87], v[108:109], v[88:89]
	v_add_f64 v[88:89], v[108:109], -v[88:89]
	v_add_f64 v[152:153], v[104:105], v[152:153]
	v_add_f64 v[74:75], v[104:105], v[74:75]
	v_mul_f64 v[102:103], v[84:85], s[18:19]
	v_add_f64 v[98:99], v[104:105], v[98:99]
	v_add_f64 v[96:97], v[104:105], v[96:97]
	;; [unrolled: 1-line block ×10, first 2 shown]
	v_fma_f64 v[104:105], v[86:87], s[16:17], v[102:103]
	v_fma_f64 v[102:103], v[86:87], s[16:17], -v[102:103]
	v_add_f64 v[94:95], v[104:105], v[94:95]
	v_mul_f64 v[104:105], v[90:91], s[16:17]
	v_add_f64 v[92:93], v[102:103], v[92:93]
	v_fma_f64 v[102:103], v[88:89], s[18:19], v[104:105]
	v_fma_f64 v[108:109], v[88:89], s[40:41], v[104:105]
	v_add_f64 v[96:97], v[102:103], v[96:97]
	v_mul_f64 v[102:103], v[84:85], s[6:7]
	v_add_f64 v[98:99], v[108:109], v[98:99]
	v_mul_f64 v[108:109], v[90:91], s[8:9]
	v_fma_f64 v[104:105], v[86:87], s[8:9], v[102:103]
	v_fma_f64 v[102:103], v[86:87], s[8:9], -v[102:103]
	v_add_f64 v[104:105], v[104:105], v[110:111]
	v_fma_f64 v[110:111], v[88:89], s[28:29], v[108:109]
	v_add_f64 v[102:103], v[102:103], v[106:107]
	v_fma_f64 v[106:107], v[88:89], s[6:7], v[108:109]
	v_mul_f64 v[108:109], v[84:85], s[34:35]
	v_add_f64 v[110:111], v[110:111], v[124:125]
	v_add_f64 v[106:107], v[106:107], v[122:123]
	v_fma_f64 v[114:115], v[86:87], s[36:37], v[108:109]
	v_fma_f64 v[108:109], v[86:87], s[36:37], -v[108:109]
	v_mul_f64 v[122:123], v[90:91], s[36:37]
	v_add_f64 v[114:115], v[114:115], v[128:129]
	v_add_f64 v[108:109], v[108:109], v[126:127]
	v_mul_f64 v[126:127], v[84:85], s[30:31]
	v_fma_f64 v[124:125], v[88:89], s[42:43], v[122:123]
	v_fma_f64 v[122:123], v[88:89], s[34:35], v[122:123]
	;; [unrolled: 1-line block ×3, first 2 shown]
	v_fma_f64 v[126:127], v[86:87], s[22:23], -v[126:127]
	v_add_f64 v[122:123], v[122:123], v[130:131]
	v_mul_f64 v[130:131], v[90:91], s[22:23]
	v_add_f64 v[124:125], v[124:125], v[132:133]
	v_add_f64 v[128:129], v[128:129], v[136:137]
	;; [unrolled: 1-line block ×3, first 2 shown]
	v_mul_f64 v[134:135], v[84:85], s[14:15]
	v_fma_f64 v[132:133], v[88:89], s[20:21], v[130:131]
	v_fma_f64 v[130:131], v[88:89], s[30:31], v[130:131]
	v_mul_f64 v[84:85], v[84:85], s[38:39]
	v_fma_f64 v[136:137], v[86:87], s[2:3], v[134:135]
	v_fma_f64 v[134:135], v[86:87], s[2:3], -v[134:135]
	v_add_f64 v[130:131], v[130:131], v[138:139]
	v_mul_f64 v[138:139], v[90:91], s[2:3]
	v_mul_f64 v[90:91], v[90:91], s[24:25]
	v_add_f64 v[132:133], v[132:133], v[140:141]
	v_add_f64 v[136:137], v[136:137], v[144:145]
	;; [unrolled: 1-line block ×3, first 2 shown]
	v_fma_f64 v[142:143], v[86:87], s[24:25], v[84:85]
	v_fma_f64 v[84:85], v[86:87], s[24:25], -v[84:85]
	v_add_f64 v[86:87], v[118:119], v[82:83]
	v_add_f64 v[82:83], v[118:119], -v[82:83]
	v_fma_f64 v[140:141], v[88:89], s[4:5], v[138:139]
	v_fma_f64 v[138:139], v[88:89], s[14:15], v[138:139]
	;; [unrolled: 1-line block ×3, first 2 shown]
	v_add_f64 v[142:143], v[142:143], v[150:151]
	v_add_f64 v[72:73], v[84:85], v[72:73]
	v_fma_f64 v[84:85], v[88:89], s[38:39], v[90:91]
	v_mul_f64 v[88:89], v[82:83], s[4:5]
	v_add_f64 v[140:141], v[140:141], v[148:149]
	v_add_f64 v[138:139], v[138:139], v[146:147]
	;; [unrolled: 1-line block ×5, first 2 shown]
	v_add_f64 v[80:81], v[116:117], -v[80:81]
	v_fma_f64 v[90:91], v[84:85], s[2:3], v[88:89]
	v_fma_f64 v[88:89], v[84:85], s[2:3], -v[88:89]
	v_add_f64 v[90:91], v[90:91], v[94:95]
	v_mul_f64 v[94:95], v[86:87], s[2:3]
	v_add_f64 v[88:89], v[88:89], v[92:93]
	v_fma_f64 v[116:117], v[80:81], s[14:15], v[94:95]
	v_fma_f64 v[92:93], v[80:81], s[4:5], v[94:95]
	v_mul_f64 v[94:95], v[82:83], s[34:35]
	v_add_f64 v[98:99], v[116:117], v[98:99]
	v_add_f64 v[92:93], v[92:93], v[96:97]
	v_fma_f64 v[96:97], v[84:85], s[36:37], v[94:95]
	v_fma_f64 v[94:95], v[84:85], s[36:37], -v[94:95]
	v_add_f64 v[96:97], v[96:97], v[104:105]
	v_mul_f64 v[104:105], v[86:87], s[36:37]
	v_add_f64 v[94:95], v[94:95], v[102:103]
	v_fma_f64 v[116:117], v[80:81], s[42:43], v[104:105]
	v_fma_f64 v[102:103], v[80:81], s[34:35], v[104:105]
	v_mul_f64 v[104:105], v[82:83], s[28:29]
	v_add_f64 v[110:111], v[116:117], v[110:111]
	v_add_f64 v[102:103], v[102:103], v[106:107]
	;; [unrolled: 10-line block ×3, first 2 shown]
	v_fma_f64 v[118:119], v[84:85], s[24:25], v[114:115]
	v_fma_f64 v[114:115], v[84:85], s[24:25], -v[114:115]
	v_mul_f64 v[122:123], v[86:87], s[24:25]
	v_add_f64 v[118:119], v[118:119], v[128:129]
	v_add_f64 v[114:115], v[114:115], v[126:127]
	v_mul_f64 v[126:127], v[82:83], s[18:19]
	v_fma_f64 v[124:125], v[80:81], s[26:27], v[122:123]
	v_fma_f64 v[122:123], v[80:81], s[38:39], v[122:123]
	v_mul_f64 v[82:83], v[82:83], s[20:21]
	v_fma_f64 v[128:129], v[84:85], s[16:17], v[126:127]
	v_fma_f64 v[126:127], v[84:85], s[16:17], -v[126:127]
	v_add_f64 v[122:123], v[122:123], v[130:131]
	v_mul_f64 v[130:131], v[86:87], s[16:17]
	v_mul_f64 v[86:87], v[86:87], s[22:23]
	v_add_f64 v[124:125], v[124:125], v[132:133]
	v_add_f64 v[128:129], v[128:129], v[136:137]
	v_add_f64 v[126:127], v[126:127], v[134:135]
	v_fma_f64 v[134:135], v[84:85], s[22:23], v[82:83]
	v_fma_f64 v[82:83], v[84:85], s[22:23], -v[82:83]
	v_fma_f64 v[132:133], v[80:81], s[40:41], v[130:131]
	v_fma_f64 v[130:131], v[80:81], s[18:19], v[130:131]
	;; [unrolled: 1-line block ×4, first 2 shown]
	v_add_f64 v[134:135], v[134:135], v[142:143]
	v_add_f64 v[72:73], v[82:83], v[72:73]
	;; [unrolled: 1-line block ×3, first 2 shown]
	v_add_f64 v[70:71], v[100:101], -v[70:71]
	v_add_f64 v[132:133], v[132:133], v[140:141]
	v_add_f64 v[74:75], v[80:81], v[74:75]
	;; [unrolled: 1-line block ×3, first 2 shown]
	v_add_f64 v[66:67], v[120:121], -v[66:67]
	v_add_f64 v[130:131], v[130:131], v[138:139]
	v_add_f64 v[136:137], v[136:137], v[144:145]
	v_mul_f64 v[84:85], v[70:71], s[6:7]
	v_fma_f64 v[86:87], v[80:81], s[8:9], v[84:85]
	v_fma_f64 v[84:85], v[80:81], s[8:9], -v[84:85]
	v_add_f64 v[86:87], v[86:87], v[90:91]
	v_mul_f64 v[90:91], v[82:83], s[8:9]
	v_add_f64 v[84:85], v[84:85], v[88:89]
	v_fma_f64 v[100:101], v[66:67], s[28:29], v[90:91]
	v_fma_f64 v[88:89], v[66:67], s[6:7], v[90:91]
	v_mul_f64 v[90:91], v[70:71], s[30:31]
	v_add_f64 v[98:99], v[100:101], v[98:99]
	v_add_f64 v[88:89], v[88:89], v[92:93]
	v_fma_f64 v[92:93], v[80:81], s[22:23], v[90:91]
	v_fma_f64 v[90:91], v[80:81], s[22:23], -v[90:91]
	v_add_f64 v[92:93], v[92:93], v[96:97]
	v_mul_f64 v[96:97], v[82:83], s[22:23]
	v_add_f64 v[90:91], v[90:91], v[94:95]
	v_fma_f64 v[100:101], v[66:67], s[20:21], v[96:97]
	v_fma_f64 v[94:95], v[66:67], s[30:31], v[96:97]
	v_mul_f64 v[96:97], v[70:71], s[38:39]
	v_add_f64 v[100:101], v[100:101], v[110:111]
	v_add_f64 v[94:95], v[94:95], v[102:103]
	;; [unrolled: 10-line block ×3, first 2 shown]
	v_fma_f64 v[108:109], v[80:81], s[2:3], v[106:107]
	v_mul_f64 v[116:117], v[82:83], s[2:3]
	v_fma_f64 v[106:107], v[80:81], s[2:3], -v[106:107]
	v_add_f64 v[108:109], v[108:109], v[118:119]
	v_fma_f64 v[118:119], v[66:67], s[14:15], v[116:117]
	v_add_f64 v[106:107], v[106:107], v[114:115]
	v_fma_f64 v[114:115], v[66:67], s[4:5], v[116:117]
	v_mul_f64 v[116:117], v[70:71], s[42:43]
	v_mul_f64 v[70:71], v[70:71], s[40:41]
	v_add_f64 v[118:119], v[118:119], v[124:125]
	v_add_f64 v[114:115], v[114:115], v[122:123]
	v_fma_f64 v[120:121], v[80:81], s[36:37], v[116:117]
	v_mul_f64 v[122:123], v[82:83], s[36:37]
	v_mul_f64 v[82:83], v[82:83], s[16:17]
	v_fma_f64 v[116:117], v[80:81], s[36:37], -v[116:117]
	v_add_f64 v[120:121], v[120:121], v[128:129]
	v_fma_f64 v[124:125], v[66:67], s[34:35], v[122:123]
	v_fma_f64 v[122:123], v[66:67], s[42:43], v[122:123]
	v_fma_f64 v[128:129], v[66:67], s[18:19], v[82:83]
	v_fma_f64 v[66:67], v[66:67], s[40:41], v[82:83]
	v_add_f64 v[116:117], v[116:117], v[126:127]
	v_fma_f64 v[126:127], v[80:81], s[16:17], v[70:71]
	v_fma_f64 v[70:71], v[80:81], s[16:17], -v[70:71]
	v_add_f64 v[124:125], v[124:125], v[132:133]
	v_add_f64 v[132:133], v[56:57], -v[58:59]
	v_add_f64 v[122:123], v[122:123], v[130:131]
	v_add_f64 v[66:67], v[66:67], v[74:75]
	;; [unrolled: 1-line block ×3, first 2 shown]
	v_add_f64 v[64:65], v[76:77], -v[64:65]
	v_add_f64 v[70:71], v[70:71], v[72:73]
	v_add_f64 v[72:73], v[78:79], v[68:69]
	v_add_f64 v[68:69], v[78:79], -v[68:69]
	v_add_f64 v[126:127], v[126:127], v[134:135]
	v_add_f64 v[128:129], v[128:129], v[136:137]
	v_add_f64 v[130:131], v[60:61], -v[62:63]
	v_mul_f64 v[80:81], v[74:75], s[22:23]
	v_mul_f64 v[76:77], v[64:65], s[20:21]
	v_fma_f64 v[82:83], v[68:69], s[30:31], v[80:81]
	v_fma_f64 v[78:79], v[72:73], s[22:23], v[76:77]
	v_fma_f64 v[76:77], v[72:73], s[22:23], -v[76:77]
	v_fma_f64 v[80:81], v[68:69], s[20:21], v[80:81]
	v_add_f64 v[82:83], v[82:83], v[98:99]
	v_add_f64 v[78:79], v[78:79], v[86:87]
	;; [unrolled: 1-line block ×3, first 2 shown]
	v_mul_f64 v[84:85], v[64:65], s[14:15]
	v_add_f64 v[80:81], v[80:81], v[88:89]
	v_mul_f64 v[88:89], v[74:75], s[2:3]
	v_mul_f64 v[98:99], v[74:75], s[16:17]
	v_fma_f64 v[86:87], v[72:73], s[2:3], v[84:85]
	v_fma_f64 v[84:85], v[72:73], s[2:3], -v[84:85]
	v_add_f64 v[86:87], v[86:87], v[92:93]
	v_fma_f64 v[92:93], v[68:69], s[4:5], v[88:89]
	v_add_f64 v[84:85], v[84:85], v[90:91]
	v_fma_f64 v[88:89], v[68:69], s[14:15], v[88:89]
	v_mul_f64 v[90:91], v[64:65], s[18:19]
	v_add_f64 v[92:93], v[92:93], v[100:101]
	v_fma_f64 v[100:101], v[68:69], s[40:41], v[98:99]
	v_add_f64 v[88:89], v[88:89], v[94:95]
	v_fma_f64 v[94:95], v[72:73], s[16:17], v[90:91]
	v_fma_f64 v[90:91], v[72:73], s[16:17], -v[90:91]
	v_add_f64 v[100:101], v[100:101], v[110:111]
	v_add_f64 v[94:95], v[94:95], v[102:103]
	;; [unrolled: 1-line block ×3, first 2 shown]
	v_fma_f64 v[96:97], v[68:69], s[18:19], v[98:99]
	v_mul_f64 v[98:99], v[64:65], s[42:43]
	v_add_f64 v[96:97], v[96:97], v[104:105]
	v_fma_f64 v[102:103], v[72:73], s[36:37], v[98:99]
	v_fma_f64 v[98:99], v[72:73], s[36:37], -v[98:99]
	v_mul_f64 v[104:105], v[74:75], s[36:37]
	v_add_f64 v[102:103], v[102:103], v[108:109]
	v_add_f64 v[98:99], v[98:99], v[106:107]
	v_mul_f64 v[106:107], v[64:65], s[38:39]
	v_fma_f64 v[108:109], v[68:69], s[34:35], v[104:105]
	v_fma_f64 v[104:105], v[68:69], s[42:43], v[104:105]
	v_mul_f64 v[64:65], v[64:65], s[6:7]
	v_fma_f64 v[110:111], v[72:73], s[24:25], v[106:107]
	v_fma_f64 v[106:107], v[72:73], s[24:25], -v[106:107]
	v_add_f64 v[104:105], v[104:105], v[114:115]
	v_mul_f64 v[114:115], v[74:75], s[24:25]
	v_mul_f64 v[74:75], v[74:75], s[8:9]
	v_add_f64 v[108:109], v[108:109], v[118:119]
	v_add_f64 v[110:111], v[110:111], v[120:121]
	v_add_f64 v[106:107], v[106:107], v[116:117]
	v_fma_f64 v[116:117], v[72:73], s[8:9], v[64:65]
	v_fma_f64 v[118:119], v[68:69], s[26:27], v[114:115]
	;; [unrolled: 1-line block ×4, first 2 shown]
	v_fma_f64 v[64:65], v[72:73], s[8:9], -v[64:65]
	v_add_f64 v[116:117], v[116:117], v[126:127]
	v_add_f64 v[126:127], v[60:61], v[62:63]
	v_mul_f64 v[60:61], v[132:133], s[34:35]
	v_add_f64 v[114:115], v[114:115], v[122:123]
	v_add_f64 v[120:121], v[120:121], v[128:129]
	;; [unrolled: 1-line block ×3, first 2 shown]
	v_fma_f64 v[64:65], v[68:69], s[6:7], v[74:75]
	v_add_f64 v[128:129], v[56:57], v[58:59]
	v_mul_f64 v[68:69], v[132:133], s[38:39]
	v_add_f64 v[118:119], v[118:119], v[124:125]
	v_fma_f64 v[56:57], v[126:127], s[36:37], v[60:61]
	v_fma_f64 v[60:61], v[126:127], s[36:37], -v[60:61]
	v_add_f64 v[124:125], v[64:65], v[66:67]
	v_mul_f64 v[62:63], v[128:129], s[36:37]
	v_fma_f64 v[64:65], v[126:127], s[24:25], v[68:69]
	v_fma_f64 v[68:69], v[126:127], s[24:25], -v[68:69]
	v_mul_f64 v[70:71], v[128:129], s[24:25]
	v_add_f64 v[56:57], v[56:57], v[78:79]
	v_add_f64 v[60:61], v[60:61], v[76:77]
	v_mul_f64 v[76:77], v[132:133], s[20:21]
	v_mul_f64 v[78:79], v[128:129], s[22:23]
	v_fma_f64 v[58:59], v[130:131], s[42:43], v[62:63]
	v_fma_f64 v[62:63], v[130:131], s[34:35], v[62:63]
	v_add_f64 v[68:69], v[68:69], v[84:85]
	v_mul_f64 v[84:85], v[132:133], s[40:41]
	v_fma_f64 v[66:67], v[130:131], s[26:27], v[70:71]
	v_add_f64 v[64:65], v[64:65], v[86:87]
	v_mul_f64 v[86:87], v[128:129], s[16:17]
	v_fma_f64 v[70:71], v[130:131], s[38:39], v[70:71]
	v_fma_f64 v[72:73], v[126:127], s[22:23], v[76:77]
	;; [unrolled: 1-line block ×3, first 2 shown]
	v_fma_f64 v[76:77], v[126:127], s[22:23], -v[76:77]
	v_fma_f64 v[78:79], v[130:131], s[20:21], v[78:79]
	v_add_f64 v[62:63], v[62:63], v[80:81]
	v_add_f64 v[58:59], v[58:59], v[82:83]
	v_fma_f64 v[80:81], v[126:127], s[16:17], v[84:85]
	v_add_f64 v[66:67], v[66:67], v[92:93]
	v_mul_f64 v[92:93], v[132:133], s[6:7]
	v_fma_f64 v[84:85], v[126:127], s[16:17], -v[84:85]
	v_fma_f64 v[82:83], v[130:131], s[18:19], v[86:87]
	v_add_f64 v[70:71], v[70:71], v[88:89]
	v_fma_f64 v[86:87], v[130:131], s[40:41], v[86:87]
	v_add_f64 v[72:73], v[72:73], v[94:95]
	v_mul_f64 v[94:95], v[128:129], s[8:9]
	v_add_f64 v[74:75], v[74:75], v[100:101]
	v_mul_f64 v[100:101], v[132:133], s[14:15]
	v_add_f64 v[76:77], v[76:77], v[90:91]
	v_add_f64 v[78:79], v[78:79], v[96:97]
	;; [unrolled: 1-line block ×3, first 2 shown]
	v_mul_f64 v[102:103], v[128:129], s[2:3]
	v_fma_f64 v[88:89], v[126:127], s[8:9], v[92:93]
	v_add_f64 v[84:85], v[84:85], v[98:99]
	v_fma_f64 v[92:93], v[126:127], s[8:9], -v[92:93]
	v_add_f64 v[82:83], v[82:83], v[108:109]
	v_add_f64 v[86:87], v[86:87], v[104:105]
	v_fma_f64 v[90:91], v[130:131], s[28:29], v[94:95]
	v_fma_f64 v[94:95], v[130:131], s[6:7], v[94:95]
	;; [unrolled: 1-line block ×3, first 2 shown]
	v_fma_f64 v[100:101], v[126:127], s[2:3], -v[100:101]
	s_mov_b32 s2, 0x7ab2bedd
	s_mov_b32 s3, 0x3f783c97
	v_fma_f64 v[98:99], v[130:131], s[4:5], v[102:103]
	v_fma_f64 v[102:103], v[130:131], s[14:15], v[102:103]
	v_add_f64 v[88:89], v[88:89], v[110:111]
	v_add_f64 v[92:93], v[92:93], v[106:107]
	s_mul_hi_u32 s4, s0, 0xd0
	v_add_f64 v[90:91], v[90:91], v[118:119]
	v_add_f64 v[94:95], v[94:95], v[114:115]
	;; [unrolled: 1-line block ×6, first 2 shown]
	ds_write_b128 v166, v[52:55]
	ds_write_b128 v166, v[56:59] offset:208
	ds_write_b128 v166, v[64:67] offset:416
	;; [unrolled: 1-line block ×12, first 2 shown]
	s_waitcnt lgkmcnt(0)
	s_barrier
	buffer_gl0_inv
	ds_read_b128 v[52:55], v166
	s_waitcnt lgkmcnt(0)
	v_mul_f64 v[56:57], v[50:51], v[54:55]
	v_mul_f64 v[50:51], v[50:51], v[52:53]
	v_fma_f64 v[56:57], v[48:49], v[52:53], v[56:57]
	v_fma_f64 v[48:49], v[48:49], v[54:55], -v[50:51]
	v_mul_f64 v[56:57], v[56:57], s[2:3]
	v_mul_f64 v[58:59], v[48:49], s[2:3]
	v_mad_u64_u32 v[48:49], null, s0, v167, 0
	s_mulk_i32 s0, 0xd0
	v_mad_u64_u32 v[49:50], null, s1, v167, v[49:50]
	v_lshlrev_b64 v[50:51], 4, v[112:113]
	s_mulk_i32 s1, 0xd0
	s_add_i32 s1, s4, s1
	v_lshlrev_b64 v[48:49], 4, v[48:49]
	v_add_co_u32 v50, vcc_lo, s12, v50
	v_add_co_ci_u32_e32 v51, vcc_lo, s13, v51, vcc_lo
	v_add_co_u32 v48, vcc_lo, v50, v48
	v_add_co_ci_u32_e32 v49, vcc_lo, v51, v49, vcc_lo
	ds_read_b128 v[50:53], v166 offset:208
	global_store_dwordx4 v[48:49], v[56:59], off
	s_waitcnt lgkmcnt(0)
	v_mul_f64 v[54:55], v[46:47], v[52:53]
	v_mul_f64 v[46:47], v[46:47], v[50:51]
	v_fma_f64 v[54:55], v[44:45], v[50:51], v[54:55]
	v_fma_f64 v[44:45], v[44:45], v[52:53], -v[46:47]
	v_add_co_u32 v52, vcc_lo, v48, s0
	v_add_co_ci_u32_e32 v53, vcc_lo, s1, v49, vcc_lo
	v_mul_f64 v[54:55], v[54:55], s[2:3]
	v_mul_f64 v[56:57], v[44:45], s[2:3]
	ds_read_b128 v[44:47], v166 offset:416
	s_waitcnt lgkmcnt(0)
	v_mul_f64 v[48:49], v[18:19], v[46:47]
	v_mul_f64 v[18:19], v[18:19], v[44:45]
	global_store_dwordx4 v[52:53], v[54:57], off
	v_add_co_u32 v52, vcc_lo, v52, s0
	v_add_co_ci_u32_e32 v53, vcc_lo, s1, v53, vcc_lo
	v_fma_f64 v[48:49], v[16:17], v[44:45], v[48:49]
	v_fma_f64 v[16:17], v[16:17], v[46:47], -v[18:19]
	v_mul_f64 v[48:49], v[48:49], s[2:3]
	v_mul_f64 v[50:51], v[16:17], s[2:3]
	ds_read_b128 v[16:19], v166 offset:624
	s_waitcnt lgkmcnt(0)
	v_mul_f64 v[44:45], v[26:27], v[18:19]
	global_store_dwordx4 v[52:53], v[48:51], off
	v_add_co_u32 v48, vcc_lo, v52, s0
	v_add_co_ci_u32_e32 v49, vcc_lo, s1, v53, vcc_lo
	v_fma_f64 v[44:45], v[24:25], v[16:17], v[44:45]
	v_mul_f64 v[16:17], v[26:27], v[16:17]
	v_mul_f64 v[44:45], v[44:45], s[2:3]
	v_fma_f64 v[16:17], v[24:25], v[18:19], -v[16:17]
	v_mul_f64 v[46:47], v[16:17], s[2:3]
	ds_read_b128 v[16:19], v166 offset:832
	s_waitcnt lgkmcnt(0)
	v_mul_f64 v[24:25], v[30:31], v[18:19]
	global_store_dwordx4 v[48:49], v[44:47], off
	v_fma_f64 v[24:25], v[28:29], v[16:17], v[24:25]
	v_mul_f64 v[16:17], v[30:31], v[16:17]
	v_mul_f64 v[24:25], v[24:25], s[2:3]
	v_fma_f64 v[16:17], v[28:29], v[18:19], -v[16:17]
	v_add_co_u32 v28, vcc_lo, v48, s0
	v_add_co_ci_u32_e32 v29, vcc_lo, s1, v49, vcc_lo
	v_mul_f64 v[26:27], v[16:17], s[2:3]
	ds_read_b128 v[16:19], v166 offset:1040
	global_store_dwordx4 v[28:29], v[24:27], off
	s_waitcnt lgkmcnt(0)
	v_mul_f64 v[24:25], v[34:35], v[18:19]
	v_add_co_u32 v28, vcc_lo, v28, s0
	v_add_co_ci_u32_e32 v29, vcc_lo, s1, v29, vcc_lo
	v_fma_f64 v[24:25], v[32:33], v[16:17], v[24:25]
	v_mul_f64 v[16:17], v[34:35], v[16:17]
	v_mul_f64 v[24:25], v[24:25], s[2:3]
	v_fma_f64 v[16:17], v[32:33], v[18:19], -v[16:17]
	v_mul_f64 v[26:27], v[16:17], s[2:3]
	ds_read_b128 v[16:19], v166 offset:1248
	global_store_dwordx4 v[28:29], v[24:27], off
	s_waitcnt lgkmcnt(0)
	v_mul_f64 v[24:25], v[38:39], v[18:19]
	v_add_co_u32 v28, vcc_lo, v28, s0
	v_add_co_ci_u32_e32 v29, vcc_lo, s1, v29, vcc_lo
	v_fma_f64 v[24:25], v[36:37], v[16:17], v[24:25]
	v_mul_f64 v[16:17], v[38:39], v[16:17]
	v_mul_f64 v[24:25], v[24:25], s[2:3]
	v_fma_f64 v[16:17], v[36:37], v[18:19], -v[16:17]
	;; [unrolled: 11-line block ×3, first 2 shown]
	v_mul_f64 v[26:27], v[16:17], s[2:3]
	ds_read_b128 v[16:19], v166 offset:1664
	global_store_dwordx4 v[28:29], v[24:27], off
	s_waitcnt lgkmcnt(0)
	v_mul_f64 v[24:25], v[10:11], v[18:19]
	v_mul_f64 v[10:11], v[10:11], v[16:17]
	v_add_co_u32 v28, vcc_lo, v28, s0
	v_add_co_ci_u32_e32 v29, vcc_lo, s1, v29, vcc_lo
	v_fma_f64 v[24:25], v[8:9], v[16:17], v[24:25]
	v_fma_f64 v[8:9], v[8:9], v[18:19], -v[10:11]
	v_mul_f64 v[24:25], v[24:25], s[2:3]
	v_mul_f64 v[26:27], v[8:9], s[2:3]
	ds_read_b128 v[8:11], v166 offset:1872
	s_waitcnt lgkmcnt(0)
	v_mul_f64 v[16:17], v[14:15], v[10:11]
	global_store_dwordx4 v[28:29], v[24:27], off
	v_add_co_u32 v24, vcc_lo, v28, s0
	v_add_co_ci_u32_e32 v25, vcc_lo, s1, v29, vcc_lo
	v_fma_f64 v[16:17], v[12:13], v[8:9], v[16:17]
	v_mul_f64 v[8:9], v[14:15], v[8:9]
	v_mul_f64 v[16:17], v[16:17], s[2:3]
	v_fma_f64 v[8:9], v[12:13], v[10:11], -v[8:9]
	v_mul_f64 v[18:19], v[8:9], s[2:3]
	ds_read_b128 v[8:11], v166 offset:2080
	s_waitcnt lgkmcnt(0)
	v_mul_f64 v[12:13], v[6:7], v[10:11]
	v_mul_f64 v[6:7], v[6:7], v[8:9]
	global_store_dwordx4 v[24:25], v[16:19], off
	v_add_co_u32 v16, vcc_lo, v24, s0
	v_add_co_ci_u32_e32 v17, vcc_lo, s1, v25, vcc_lo
	v_fma_f64 v[12:13], v[4:5], v[8:9], v[12:13]
	v_fma_f64 v[4:5], v[4:5], v[10:11], -v[6:7]
	v_mul_f64 v[12:13], v[12:13], s[2:3]
	v_mul_f64 v[14:15], v[4:5], s[2:3]
	ds_read_b128 v[4:7], v166 offset:2288
	s_waitcnt lgkmcnt(0)
	v_mul_f64 v[8:9], v[22:23], v[6:7]
	global_store_dwordx4 v[16:17], v[12:15], off
	v_add_co_u32 v12, vcc_lo, v16, s0
	v_add_co_ci_u32_e32 v13, vcc_lo, s1, v17, vcc_lo
	v_fma_f64 v[8:9], v[20:21], v[4:5], v[8:9]
	v_mul_f64 v[4:5], v[22:23], v[4:5]
	v_mul_f64 v[8:9], v[8:9], s[2:3]
	v_fma_f64 v[4:5], v[20:21], v[6:7], -v[4:5]
	v_mul_f64 v[10:11], v[4:5], s[2:3]
	ds_read_b128 v[4:7], v166 offset:2496
	global_store_dwordx4 v[12:13], v[8:11], off
	s_waitcnt lgkmcnt(0)
	v_mul_f64 v[8:9], v[2:3], v[6:7]
	v_mul_f64 v[2:3], v[2:3], v[4:5]
	v_fma_f64 v[8:9], v[0:1], v[4:5], v[8:9]
	v_fma_f64 v[0:1], v[0:1], v[6:7], -v[2:3]
	v_mul_f64 v[8:9], v[8:9], s[2:3]
	v_mul_f64 v[10:11], v[0:1], s[2:3]
	v_add_co_u32 v0, vcc_lo, v12, s0
	v_add_co_ci_u32_e32 v1, vcc_lo, s1, v13, vcc_lo
	global_store_dwordx4 v[0:1], v[8:11], off
.LBB0_2:
	s_endpgm
	.section	.rodata,"a",@progbits
	.p2align	6, 0x0
	.amdhsa_kernel bluestein_single_fwd_len169_dim1_dp_op_CI_CI
		.amdhsa_group_segment_fixed_size 51376
		.amdhsa_private_segment_fixed_size 0
		.amdhsa_kernarg_size 104
		.amdhsa_user_sgpr_count 6
		.amdhsa_user_sgpr_private_segment_buffer 1
		.amdhsa_user_sgpr_dispatch_ptr 0
		.amdhsa_user_sgpr_queue_ptr 0
		.amdhsa_user_sgpr_kernarg_segment_ptr 1
		.amdhsa_user_sgpr_dispatch_id 0
		.amdhsa_user_sgpr_flat_scratch_init 0
		.amdhsa_user_sgpr_private_segment_size 0
		.amdhsa_wavefront_size32 1
		.amdhsa_uses_dynamic_stack 0
		.amdhsa_system_sgpr_private_segment_wavefront_offset 0
		.amdhsa_system_sgpr_workgroup_id_x 1
		.amdhsa_system_sgpr_workgroup_id_y 0
		.amdhsa_system_sgpr_workgroup_id_z 0
		.amdhsa_system_sgpr_workgroup_info 0
		.amdhsa_system_vgpr_workitem_id 0
		.amdhsa_next_free_vgpr 209
		.amdhsa_next_free_sgpr 44
		.amdhsa_reserve_vcc 1
		.amdhsa_reserve_flat_scratch 0
		.amdhsa_float_round_mode_32 0
		.amdhsa_float_round_mode_16_64 0
		.amdhsa_float_denorm_mode_32 3
		.amdhsa_float_denorm_mode_16_64 3
		.amdhsa_dx10_clamp 1
		.amdhsa_ieee_mode 1
		.amdhsa_fp16_overflow 0
		.amdhsa_workgroup_processor_mode 1
		.amdhsa_memory_ordered 1
		.amdhsa_forward_progress 0
		.amdhsa_shared_vgpr_count 0
		.amdhsa_exception_fp_ieee_invalid_op 0
		.amdhsa_exception_fp_denorm_src 0
		.amdhsa_exception_fp_ieee_div_zero 0
		.amdhsa_exception_fp_ieee_overflow 0
		.amdhsa_exception_fp_ieee_underflow 0
		.amdhsa_exception_fp_ieee_inexact 0
		.amdhsa_exception_int_div_zero 0
	.end_amdhsa_kernel
	.text
.Lfunc_end0:
	.size	bluestein_single_fwd_len169_dim1_dp_op_CI_CI, .Lfunc_end0-bluestein_single_fwd_len169_dim1_dp_op_CI_CI
                                        ; -- End function
	.section	.AMDGPU.csdata,"",@progbits
; Kernel info:
; codeLenInByte = 18484
; NumSgprs: 46
; NumVgprs: 209
; ScratchSize: 0
; MemoryBound: 0
; FloatMode: 240
; IeeeMode: 1
; LDSByteSize: 51376 bytes/workgroup (compile time only)
; SGPRBlocks: 5
; VGPRBlocks: 26
; NumSGPRsForWavesPerEU: 46
; NumVGPRsForWavesPerEU: 209
; Occupancy: 4
; WaveLimiterHint : 1
; COMPUTE_PGM_RSRC2:SCRATCH_EN: 0
; COMPUTE_PGM_RSRC2:USER_SGPR: 6
; COMPUTE_PGM_RSRC2:TRAP_HANDLER: 0
; COMPUTE_PGM_RSRC2:TGID_X_EN: 1
; COMPUTE_PGM_RSRC2:TGID_Y_EN: 0
; COMPUTE_PGM_RSRC2:TGID_Z_EN: 0
; COMPUTE_PGM_RSRC2:TIDIG_COMP_CNT: 0
	.text
	.p2alignl 6, 3214868480
	.fill 48, 4, 3214868480
	.type	__hip_cuid_2a8b8e648cb534c3,@object ; @__hip_cuid_2a8b8e648cb534c3
	.section	.bss,"aw",@nobits
	.globl	__hip_cuid_2a8b8e648cb534c3
__hip_cuid_2a8b8e648cb534c3:
	.byte	0                               ; 0x0
	.size	__hip_cuid_2a8b8e648cb534c3, 1

	.ident	"AMD clang version 19.0.0git (https://github.com/RadeonOpenCompute/llvm-project roc-6.4.0 25133 c7fe45cf4b819c5991fe208aaa96edf142730f1d)"
	.section	".note.GNU-stack","",@progbits
	.addrsig
	.addrsig_sym __hip_cuid_2a8b8e648cb534c3
	.amdgpu_metadata
---
amdhsa.kernels:
  - .args:
      - .actual_access:  read_only
        .address_space:  global
        .offset:         0
        .size:           8
        .value_kind:     global_buffer
      - .actual_access:  read_only
        .address_space:  global
        .offset:         8
        .size:           8
        .value_kind:     global_buffer
      - .actual_access:  read_only
        .address_space:  global
        .offset:         16
        .size:           8
        .value_kind:     global_buffer
      - .actual_access:  read_only
        .address_space:  global
        .offset:         24
        .size:           8
        .value_kind:     global_buffer
      - .actual_access:  read_only
        .address_space:  global
        .offset:         32
        .size:           8
        .value_kind:     global_buffer
      - .offset:         40
        .size:           8
        .value_kind:     by_value
      - .address_space:  global
        .offset:         48
        .size:           8
        .value_kind:     global_buffer
      - .address_space:  global
        .offset:         56
        .size:           8
        .value_kind:     global_buffer
      - .address_space:  global
        .offset:         64
        .size:           8
        .value_kind:     global_buffer
      - .address_space:  global
        .offset:         72
        .size:           8
        .value_kind:     global_buffer
      - .offset:         80
        .size:           4
        .value_kind:     by_value
      - .address_space:  global
        .offset:         88
        .size:           8
        .value_kind:     global_buffer
      - .address_space:  global
        .offset:         96
        .size:           8
        .value_kind:     global_buffer
    .group_segment_fixed_size: 51376
    .kernarg_segment_align: 8
    .kernarg_segment_size: 104
    .language:       OpenCL C
    .language_version:
      - 2
      - 0
    .max_flat_workgroup_size: 247
    .name:           bluestein_single_fwd_len169_dim1_dp_op_CI_CI
    .private_segment_fixed_size: 0
    .sgpr_count:     46
    .sgpr_spill_count: 0
    .symbol:         bluestein_single_fwd_len169_dim1_dp_op_CI_CI.kd
    .uniform_work_group_size: 1
    .uses_dynamic_stack: false
    .vgpr_count:     209
    .vgpr_spill_count: 0
    .wavefront_size: 32
    .workgroup_processor_mode: 1
amdhsa.target:   amdgcn-amd-amdhsa--gfx1030
amdhsa.version:
  - 1
  - 2
...

	.end_amdgpu_metadata
